;; amdgpu-corpus repo=ROCm/rocFFT kind=compiled arch=gfx906 opt=O3
	.text
	.amdgcn_target "amdgcn-amd-amdhsa--gfx906"
	.amdhsa_code_object_version 6
	.protected	bluestein_single_fwd_len910_dim1_sp_op_CI_CI ; -- Begin function bluestein_single_fwd_len910_dim1_sp_op_CI_CI
	.globl	bluestein_single_fwd_len910_dim1_sp_op_CI_CI
	.p2align	8
	.type	bluestein_single_fwd_len910_dim1_sp_op_CI_CI,@function
bluestein_single_fwd_len910_dim1_sp_op_CI_CI: ; @bluestein_single_fwd_len910_dim1_sp_op_CI_CI
; %bb.0:
	s_load_dwordx4 s[0:3], s[4:5], 0x28
	v_mul_u32_u24_e32 v1, 0x2d1, v0
	v_lshrrev_b32_e32 v1, 16, v1
	v_lshl_add_u32 v66, s6, 1, v1
	v_mov_b32_e32 v67, 0
	s_waitcnt lgkmcnt(0)
	v_cmp_gt_u64_e32 vcc, s[0:1], v[66:67]
	s_and_saveexec_b64 s[0:1], vcc
	s_cbranch_execz .LBB0_23
; %bb.1:
	s_load_dwordx2 s[10:11], s[4:5], 0x0
	s_load_dwordx2 s[8:9], s[4:5], 0x38
	v_mul_lo_u16_e32 v2, 0x5b, v1
	v_sub_u16_e32 v85, v0, v2
	v_and_b32_e32 v0, 1, v1
	v_mov_b32_e32 v1, 0x38e
	v_cmp_eq_u32_e32 vcc, 1, v0
	v_cndmask_b32_e32 v54, 0, v1, vcc
	s_movk_i32 s0, 0x46
	v_cmp_gt_u16_e64 s[0:1], s0, v85
	v_lshlrev_b32_e32 v86, 3, v85
	v_lshlrev_b32_e32 v87, 3, v54
	s_and_saveexec_b64 s[6:7], s[0:1]
	s_cbranch_execz .LBB0_3
; %bb.2:
	s_load_dwordx2 s[12:13], s[4:5], 0x18
	s_waitcnt lgkmcnt(0)
	s_load_dwordx4 s[12:15], s[12:13], 0x0
	s_waitcnt lgkmcnt(0)
	v_mad_u64_u32 v[0:1], s[16:17], s14, v66, 0
	v_mad_u64_u32 v[2:3], s[16:17], s12, v85, 0
	v_mad_u64_u32 v[4:5], s[14:15], s15, v66, v[1:2]
	v_mad_u64_u32 v[5:6], s[14:15], s13, v85, v[3:4]
	v_mov_b32_e32 v1, v4
	v_lshlrev_b64 v[0:1], 3, v[0:1]
	v_mov_b32_e32 v3, v5
	v_mov_b32_e32 v6, s3
	v_lshlrev_b64 v[2:3], 3, v[2:3]
	v_add_co_u32_e32 v0, vcc, s2, v0
	v_addc_co_u32_e32 v1, vcc, v6, v1, vcc
	v_add_co_u32_e32 v0, vcc, v0, v2
	v_addc_co_u32_e32 v1, vcc, v1, v3, vcc
	v_mov_b32_e32 v2, s11
	v_add_co_u32_e32 v36, vcc, s10, v86
	s_mul_i32 s2, s13, 0x230
	s_mul_hi_u32 s3, s12, 0x230
	v_addc_co_u32_e32 v37, vcc, 0, v2, vcc
	s_add_i32 s2, s3, s2
	s_mul_i32 s3, s12, 0x230
	v_mov_b32_e32 v3, s2
	v_add_co_u32_e32 v2, vcc, s3, v0
	v_addc_co_u32_e32 v3, vcc, v1, v3, vcc
	v_mov_b32_e32 v5, s2
	v_add_co_u32_e32 v4, vcc, s3, v2
	v_addc_co_u32_e32 v5, vcc, v3, v5, vcc
	;; [unrolled: 3-line block ×3, first 2 shown]
	global_load_dwordx2 v[8:9], v[0:1], off
	global_load_dwordx2 v[10:11], v[2:3], off
	;; [unrolled: 1-line block ×4, first 2 shown]
	global_load_dwordx2 v[16:17], v86, s[10:11]
	global_load_dwordx2 v[18:19], v86, s[10:11] offset:560
	global_load_dwordx2 v[20:21], v86, s[10:11] offset:1120
	;; [unrolled: 1-line block ×3, first 2 shown]
	v_mov_b32_e32 v1, s2
	v_add_co_u32_e32 v0, vcc, s3, v6
	v_addc_co_u32_e32 v1, vcc, v7, v1, vcc
	global_load_dwordx2 v[2:3], v[0:1], off
	v_mov_b32_e32 v4, s2
	v_add_co_u32_e32 v0, vcc, s3, v0
	v_addc_co_u32_e32 v1, vcc, v1, v4, vcc
	global_load_dwordx2 v[4:5], v[0:1], off
	;; [unrolled: 4-line block ×4, first 2 shown]
	global_load_dwordx2 v[26:27], v86, s[10:11] offset:2240
	global_load_dwordx2 v[28:29], v86, s[10:11] offset:2800
	;; [unrolled: 1-line block ×4, first 2 shown]
	v_mov_b32_e32 v34, s2
	v_add_co_u32_e32 v0, vcc, s3, v0
	v_addc_co_u32_e32 v1, vcc, v1, v34, vcc
	s_movk_i32 s12, 0x1000
	v_add_co_u32_e32 v36, vcc, s12, v36
	v_addc_co_u32_e32 v37, vcc, 0, v37, vcc
	global_load_dwordx2 v[34:35], v[0:1], off
	v_mov_b32_e32 v40, s2
	v_add_co_u32_e32 v0, vcc, s3, v0
	v_addc_co_u32_e32 v1, vcc, v1, v40, vcc
	global_load_dwordx2 v[40:41], v[0:1], off
	v_mov_b32_e32 v42, s2
	v_add_co_u32_e32 v0, vcc, s3, v0
	v_addc_co_u32_e32 v1, vcc, v1, v42, vcc
	global_load_dwordx2 v[38:39], v[36:37], off offset:384
	global_load_dwordx2 v[42:43], v[0:1], off
	global_load_dwordx2 v[44:45], v[36:37], off offset:944
	global_load_dwordx2 v[46:47], v[36:37], off offset:1504
	v_mov_b32_e32 v48, s2
	v_add_co_u32_e32 v0, vcc, s3, v0
	v_addc_co_u32_e32 v1, vcc, v1, v48, vcc
	global_load_dwordx2 v[48:49], v[0:1], off
	global_load_dwordx2 v[50:51], v[36:37], off offset:2064
	v_mov_b32_e32 v52, s2
	v_add_co_u32_e32 v0, vcc, s3, v0
	v_addc_co_u32_e32 v1, vcc, v1, v52, vcc
	global_load_dwordx2 v[52:53], v[0:1], off
	global_load_dwordx2 v[55:56], v[36:37], off offset:2624
	v_lshl_add_u32 v36, v85, 3, v87
	s_waitcnt vmcnt(21)
	v_mul_f32_e32 v0, v9, v17
	v_mul_f32_e32 v1, v8, v17
	v_fmac_f32_e32 v0, v8, v16
	v_fma_f32 v1, v9, v16, -v1
	ds_write_b64 v36, v[0:1]
	s_waitcnt vmcnt(20)
	v_mul_f32_e32 v0, v11, v19
	v_mul_f32_e32 v1, v10, v19
	s_waitcnt vmcnt(19)
	v_mul_f32_e32 v8, v13, v21
	v_mul_f32_e32 v9, v12, v21
	v_fmac_f32_e32 v0, v10, v18
	v_add_u32_e32 v16, v87, v86
	v_fma_f32 v1, v11, v18, -v1
	v_fmac_f32_e32 v8, v12, v20
	v_fma_f32 v9, v13, v20, -v9
	ds_write2_b64 v16, v[0:1], v[8:9] offset0:70 offset1:140
	s_waitcnt vmcnt(18)
	v_mul_f32_e32 v0, v15, v23
	v_mul_f32_e32 v1, v14, v23
	v_fmac_f32_e32 v0, v14, v22
	v_fma_f32 v1, v15, v22, -v1
	s_waitcnt vmcnt(13)
	v_mul_f32_e32 v8, v3, v27
	v_fmac_f32_e32 v8, v2, v26
	v_mul_f32_e32 v2, v2, v27
	v_fma_f32 v9, v3, v26, -v2
	v_add_u32_e32 v2, 0x400, v16
	ds_write2_b64 v2, v[0:1], v[8:9] offset0:82 offset1:152
	s_waitcnt vmcnt(12)
	v_mul_f32_e32 v0, v5, v29
	v_mul_f32_e32 v1, v4, v29
	s_waitcnt vmcnt(11)
	v_mul_f32_e32 v2, v7, v31
	v_mul_f32_e32 v3, v6, v31
	v_fmac_f32_e32 v0, v4, v28
	v_fma_f32 v1, v5, v28, -v1
	v_fmac_f32_e32 v2, v6, v30
	v_fma_f32 v3, v7, v30, -v3
	v_add_u32_e32 v4, 0x800, v16
	ds_write2_b64 v4, v[0:1], v[2:3] offset0:94 offset1:164
	s_waitcnt vmcnt(10)
	v_mul_f32_e32 v0, v25, v33
	v_mul_f32_e32 v1, v24, v33
	v_fmac_f32_e32 v0, v24, v32
	v_fma_f32 v1, v25, v32, -v1
	v_add_u32_e32 v4, 0xc00, v16
	s_waitcnt vmcnt(7)
	v_mul_f32_e32 v2, v35, v39
	v_mul_f32_e32 v3, v34, v39
	v_fmac_f32_e32 v2, v34, v38
	v_fma_f32 v3, v35, v38, -v3
	ds_write2_b64 v4, v[0:1], v[2:3] offset0:106 offset1:176
	s_waitcnt vmcnt(5)
	v_mul_f32_e32 v0, v41, v45
	v_mul_f32_e32 v1, v40, v45
	s_waitcnt vmcnt(4)
	v_mul_f32_e32 v2, v43, v47
	v_mul_f32_e32 v3, v42, v47
	v_fmac_f32_e32 v0, v40, v44
	v_fma_f32 v1, v41, v44, -v1
	v_fmac_f32_e32 v2, v42, v46
	v_fma_f32 v3, v43, v46, -v3
	v_add_u32_e32 v4, 0x1000, v16
	ds_write2_b64 v4, v[0:1], v[2:3] offset0:118 offset1:188
	s_waitcnt vmcnt(2)
	v_mul_f32_e32 v0, v49, v51
	v_mul_f32_e32 v1, v48, v51
	s_waitcnt vmcnt(0)
	v_mul_f32_e32 v2, v53, v56
	v_mul_f32_e32 v3, v52, v56
	v_fmac_f32_e32 v0, v48, v50
	v_fma_f32 v1, v49, v50, -v1
	v_fmac_f32_e32 v2, v52, v55
	v_fma_f32 v3, v53, v55, -v3
	v_add_u32_e32 v4, 0x1800, v16
	ds_write2_b64 v4, v[0:1], v[2:3] offset0:2 offset1:72
.LBB0_3:
	s_or_b64 exec, exec, s[6:7]
	s_load_dwordx2 s[2:3], s[4:5], 0x20
	s_load_dwordx2 s[12:13], s[4:5], 0x8
	v_mov_b32_e32 v0, 0
	v_mov_b32_e32 v1, 0
	s_waitcnt lgkmcnt(0)
	s_barrier
	s_waitcnt lgkmcnt(0)
                                        ; implicit-def: $vgpr20
                                        ; implicit-def: $vgpr26
                                        ; implicit-def: $vgpr18
                                        ; implicit-def: $vgpr14
                                        ; implicit-def: $vgpr10
                                        ; implicit-def: $vgpr6
	s_and_saveexec_b64 s[4:5], s[0:1]
	s_cbranch_execz .LBB0_5
; %bb.4:
	v_lshl_add_u32 v24, v54, 3, v86
	v_add_u32_e32 v12, 0x800, v24
	v_add_u32_e32 v16, 0x1000, v24
	;; [unrolled: 1-line block ×3, first 2 shown]
	ds_read2_b64 v[0:3], v24 offset1:70
	ds_read2_b64 v[4:7], v24 offset0:140 offset1:210
	ds_read2_b64 v[8:11], v12 offset0:24 offset1:94
	;; [unrolled: 1-line block ×5, first 2 shown]
	ds_read_b64 v[26:27], v24 offset:6720
.LBB0_5:
	s_or_b64 exec, exec, s[4:5]
	s_waitcnt lgkmcnt(0)
	v_sub_f32_e32 v92, v3, v27
	v_mul_f32_e32 v31, 0xbf52af12, v92
	v_add_f32_e32 v45, v26, v2
	v_sub_f32_e32 v57, v2, v26
	v_mov_b32_e32 v30, v31
	v_add_f32_e32 v58, v27, v3
	s_mov_b32 s6, 0x3f116cb1
	v_mul_f32_e32 v33, 0xbf52af12, v57
	v_fmac_f32_e32 v30, 0x3f116cb1, v45
	v_mul_f32_e32 v28, 0xbeedf032, v92
	v_add_f32_e32 v34, v30, v0
	v_fma_f32 v30, v58, s6, -v33
	v_sub_f32_e32 v93, v5, v23
	v_mov_b32_e32 v24, v28
	v_add_f32_e32 v36, v30, v1
	v_mul_f32_e32 v30, 0xbf52af12, v93
	s_mov_b32 s7, 0x3f62ad3f
	v_mul_f32_e32 v29, 0xbeedf032, v57
	v_fmac_f32_e32 v24, 0x3f62ad3f, v45
	v_add_f32_e32 v52, v22, v4
	v_sub_f32_e32 v65, v4, v22
	v_mov_b32_e32 v35, v30
	v_add_f32_e32 v24, v24, v0
	v_fma_f32 v25, v58, s7, -v29
	v_add_f32_e32 v59, v23, v5
	v_mul_f32_e32 v32, 0xbf52af12, v65
	v_fmac_f32_e32 v35, 0x3f116cb1, v52
	v_add_f32_e32 v25, v25, v1
	v_add_f32_e32 v24, v35, v24
	v_fma_f32 v35, v59, s6, -v32
	v_add_f32_e32 v25, v35, v25
	v_mul_f32_e32 v35, 0xbf6f5d39, v93
	v_mov_b32_e32 v37, v35
	s_mov_b32 s16, 0xbeb58ec6
	v_mul_f32_e32 v39, 0xbf6f5d39, v65
	v_fmac_f32_e32 v37, 0xbeb58ec6, v52
	v_add_f32_e32 v37, v37, v34
	v_fma_f32 v34, v59, s16, -v39
	v_sub_f32_e32 v94, v7, v21
	v_add_f32_e32 v36, v34, v36
	v_mul_f32_e32 v34, 0xbf7e222b, v94
	v_add_f32_e32 v56, v20, v6
	v_sub_f32_e32 v70, v6, v20
	v_mov_b32_e32 v40, v34
	s_mov_b32 s14, 0x3df6dbef
	v_add_f32_e32 v61, v21, v7
	v_mul_f32_e32 v38, 0xbf7e222b, v70
	v_fmac_f32_e32 v40, 0x3df6dbef, v56
	v_add_f32_e32 v24, v40, v24
	v_fma_f32 v40, v61, s14, -v38
	v_mul_f32_e32 v41, 0xbe750f2a, v94
	v_add_f32_e32 v25, v40, v25
	v_mov_b32_e32 v40, v41
	s_mov_b32 s15, 0xbf788fa5
	v_mul_f32_e32 v43, 0xbe750f2a, v70
	v_fmac_f32_e32 v40, 0xbf788fa5, v56
	v_add_f32_e32 v37, v40, v37
	v_fma_f32 v40, v61, s15, -v43
	v_sub_f32_e32 v95, v9, v19
	v_add_f32_e32 v36, v40, v36
	v_mul_f32_e32 v40, 0xbf6f5d39, v95
	v_add_f32_e32 v62, v18, v8
	v_sub_f32_e32 v75, v8, v18
	v_mov_b32_e32 v44, v40
	v_add_f32_e32 v63, v19, v9
	v_mul_f32_e32 v42, 0xbf6f5d39, v75
	v_fmac_f32_e32 v44, 0xbeb58ec6, v62
	v_add_f32_e32 v24, v44, v24
	v_fma_f32 v44, v63, s16, -v42
	v_mul_f32_e32 v48, 0x3f29c268, v95
	v_add_f32_e32 v25, v44, v25
	v_mov_b32_e32 v44, v48
	s_mov_b32 s17, 0xbf3f9e67
	v_mul_f32_e32 v50, 0x3f29c268, v75
	v_fmac_f32_e32 v44, 0xbf3f9e67, v62
	v_add_f32_e32 v37, v44, v37
	v_fma_f32 v44, v63, s17, -v50
	v_sub_f32_e32 v96, v11, v17
	v_add_f32_e32 v36, v44, v36
	v_mul_f32_e32 v44, 0xbf29c268, v96
	v_add_f32_e32 v67, v16, v10
	v_sub_f32_e32 v79, v10, v16
	v_mov_b32_e32 v46, v44
	v_add_f32_e32 v68, v17, v11
	v_mul_f32_e32 v49, 0xbf29c268, v79
	v_fmac_f32_e32 v46, 0xbf3f9e67, v67
	v_sub_f32_e32 v97, v13, v15
	v_add_f32_e32 v24, v46, v24
	v_fma_f32 v46, v68, s17, -v49
	v_mul_f32_e32 v51, 0xbe750f2a, v97
	v_add_f32_e32 v25, v46, v25
	v_add_f32_e32 v71, v14, v12
	v_sub_f32_e32 v90, v12, v14
	v_mov_b32_e32 v46, v51
	v_add_f32_e32 v72, v15, v13
	v_mul_f32_e32 v55, 0xbe750f2a, v90
	v_fmac_f32_e32 v46, 0xbf788fa5, v71
	v_mul_f32_e32 v53, 0x3f7e222b, v96
	v_add_f32_e32 v24, v46, v24
	v_fma_f32 v46, v72, s15, -v55
	v_add_f32_e32 v25, v46, v25
	v_mov_b32_e32 v46, v53
	v_mul_f32_e32 v64, 0x3f7e222b, v79
	v_fmac_f32_e32 v46, 0x3df6dbef, v67
	v_add_f32_e32 v37, v46, v37
	v_fma_f32 v46, v68, s14, -v64
	v_mul_f32_e32 v60, 0x3eedf032, v97
	v_add_f32_e32 v46, v46, v36
	v_mov_b32_e32 v36, v60
	v_fmac_f32_e32 v36, 0x3f62ad3f, v71
	v_mul_f32_e32 v69, 0x3eedf032, v90
	v_add_f32_e32 v36, v36, v37
	v_fma_f32 v37, v72, s7, -v69
	v_mul_f32_e32 v73, 0xbf7e222b, v92
	v_add_f32_e32 v37, v37, v46
	v_mov_b32_e32 v46, v73
	v_mul_f32_e32 v74, 0xbe750f2a, v93
	v_fmac_f32_e32 v46, 0x3df6dbef, v45
	v_mov_b32_e32 v47, v74
	v_add_f32_e32 v46, v46, v0
	v_fmac_f32_e32 v47, 0xbf788fa5, v52
	v_mul_f32_e32 v81, 0xbf7e222b, v57
	v_add_f32_e32 v46, v47, v46
	v_fma_f32 v47, v58, s14, -v81
	v_mul_f32_e32 v82, 0xbe750f2a, v65
	v_add_f32_e32 v47, v47, v1
	v_fma_f32 v76, v59, s15, -v82
	v_add_f32_e32 v47, v76, v47
	v_mul_f32_e32 v76, 0x3f6f5d39, v94
	v_mov_b32_e32 v77, v76
	v_fmac_f32_e32 v77, 0xbeb58ec6, v56
	v_mul_f32_e32 v83, 0x3f6f5d39, v70
	v_add_f32_e32 v46, v77, v46
	v_fma_f32 v77, v61, s16, -v83
	v_add_f32_e32 v47, v77, v47
	v_mul_f32_e32 v77, 0x3eedf032, v95
	v_mov_b32_e32 v78, v77
	v_fmac_f32_e32 v78, 0x3f62ad3f, v62
	v_mul_f32_e32 v84, 0x3eedf032, v75
	v_add_f32_e32 v46, v78, v46
	v_fma_f32 v78, v63, s7, -v84
	v_add_f32_e32 v47, v78, v47
	v_mul_f32_e32 v78, 0xbf52af12, v96
	v_mov_b32_e32 v80, v78
	v_fmac_f32_e32 v80, 0x3f116cb1, v67
	v_mul_f32_e32 v89, 0xbf52af12, v79
	v_add_f32_e32 v46, v80, v46
	v_fma_f32 v80, v68, s6, -v89
	v_add_f32_e32 v47, v80, v47
	v_mul_f32_e32 v80, 0xbf29c268, v97
	v_mov_b32_e32 v88, v80
	v_fmac_f32_e32 v88, 0xbf3f9e67, v71
	v_mul_f32_e32 v91, 0xbf29c268, v90
	v_add_f32_e32 v46, v88, v46
	v_fma_f32 v88, v72, s17, -v91
	v_add_f32_e32 v47, v88, v47
	v_mul_lo_u16_e32 v88, 13, v85
	s_barrier
	s_and_saveexec_b64 s[4:5], s[0:1]
	s_cbranch_execz .LBB0_7
; %bb.6:
	v_mul_f32_e32 v102, 0xbeb58ec6, v58
	v_mov_b32_e32 v98, v102
	v_mul_f32_e32 v103, 0xbf3f9e67, v59
	v_fmac_f32_e32 v98, 0x3f6f5d39, v57
	v_mov_b32_e32 v99, v103
	v_add_f32_e32 v98, v98, v1
	v_fmac_f32_e32 v99, 0xbf29c268, v65
	v_mul_f32_e32 v104, 0x3f62ad3f, v61
	v_add_f32_e32 v98, v99, v98
	v_mov_b32_e32 v99, v104
	v_fmac_f32_e32 v99, 0xbeedf032, v70
	v_mul_f32_e32 v105, 0x3df6dbef, v63
	v_add_f32_e32 v98, v99, v98
	v_mov_b32_e32 v99, v105
	;; [unrolled: 4-line block ×5, first 2 shown]
	v_mul_f32_e32 v109, 0x3f29c268, v93
	v_fmac_f32_e32 v98, 0xbeb58ec6, v45
	v_mov_b32_e32 v100, v109
	v_add_f32_e32 v98, v98, v0
	v_fmac_f32_e32 v100, 0xbf3f9e67, v52
	v_mul_f32_e32 v110, 0x3eedf032, v94
	v_add_f32_e32 v98, v100, v98
	v_mov_b32_e32 v100, v110
	v_fmac_f32_e32 v100, 0x3f62ad3f, v56
	v_mul_f32_e32 v111, 0xbf7e222b, v95
	v_add_f32_e32 v98, v100, v98
	v_mov_b32_e32 v100, v111
	;; [unrolled: 4-line block ×5, first 2 shown]
	v_mul_f32_e32 v115, 0x3df6dbef, v59
	v_fmac_f32_e32 v100, 0x3f29c268, v57
	v_mov_b32_e32 v101, v115
	v_add_f32_e32 v100, v100, v1
	v_fmac_f32_e32 v101, 0xbf7e222b, v65
	v_mul_f32_e32 v116, 0x3f116cb1, v61
	v_add_f32_e32 v100, v101, v100
	v_mov_b32_e32 v101, v116
	v_fmac_f32_e32 v101, 0x3f52af12, v70
	v_mul_f32_e32 v117, 0xbf788fa5, v63
	v_add_f32_e32 v100, v101, v100
	v_mov_b32_e32 v101, v117
	v_fmac_f32_e32 v101, 0xbe750f2a, v75
	v_mul_f32_e32 v118, 0x3f62ad3f, v68
	v_add_f32_e32 v100, v101, v100
	v_mov_b32_e32 v101, v118
	v_fmac_f32_e32 v101, 0xbeedf032, v79
	v_mul_f32_e32 v119, 0xbf29c268, v92
	v_add_f32_e32 v100, v101, v100
	v_mov_b32_e32 v101, v119
	v_mul_f32_e32 v120, 0x3f7e222b, v93
	v_fmac_f32_e32 v101, 0xbf3f9e67, v45
	v_mov_b32_e32 v121, v120
	v_add_f32_e32 v101, v101, v0
	v_fmac_f32_e32 v121, 0x3df6dbef, v52
	v_add_f32_e32 v101, v121, v101
	v_mul_f32_e32 v121, 0xbf52af12, v94
	v_mov_b32_e32 v122, v121
	v_fmac_f32_e32 v122, 0x3f116cb1, v56
	v_add_f32_e32 v101, v122, v101
	v_mul_f32_e32 v122, 0x3e750f2a, v95
	v_mov_b32_e32 v123, v122
	;; [unrolled: 4-line block ×3, first 2 shown]
	v_fmac_f32_e32 v124, 0x3f62ad3f, v67
	v_mul_f32_e32 v125, 0xbeb58ec6, v72
	v_add_f32_e32 v124, v124, v101
	v_mov_b32_e32 v101, v125
	v_fmac_f32_e32 v101, 0x3f6f5d39, v90
	v_mul_f32_e32 v126, 0xbf6f5d39, v97
	v_add_f32_e32 v101, v101, v100
	v_mov_b32_e32 v100, v126
	v_fmac_f32_e32 v100, 0xbeb58ec6, v71
	v_add_f32_e32 v100, v100, v124
	v_mul_f32_e32 v124, 0xbf788fa5, v58
	v_mov_b32_e32 v127, v124
	v_mul_f32_e32 v128, 0x3f62ad3f, v59
	v_fmac_f32_e32 v127, 0x3e750f2a, v57
	v_mov_b32_e32 v129, v128
	v_add_f32_e32 v127, v127, v1
	v_fmac_f32_e32 v129, 0xbeedf032, v65
	v_add_f32_e32 v127, v129, v127
	v_mul_f32_e32 v129, 0xbf3f9e67, v61
	v_mov_b32_e32 v130, v129
	v_fmac_f32_e32 v130, 0x3f29c268, v70
	v_add_f32_e32 v127, v130, v127
	v_mul_f32_e32 v130, 0x3f116cb1, v63
	v_mov_b32_e32 v131, v130
	;; [unrolled: 4-line block ×4, first 2 shown]
	v_mul_f32_e32 v133, 0x3eedf032, v93
	v_fmac_f32_e32 v92, 0xbf788fa5, v45
	v_mov_b32_e32 v93, v133
	v_add_f32_e32 v92, v92, v0
	v_fmac_f32_e32 v93, 0x3f62ad3f, v52
	v_mul_f32_e32 v94, 0xbf29c268, v94
	v_add_f32_e32 v92, v93, v92
	v_mov_b32_e32 v93, v94
	v_fmac_f32_e32 v93, 0xbf3f9e67, v56
	v_mul_f32_e32 v95, 0x3f52af12, v95
	v_add_f32_e32 v92, v93, v92
	v_mov_b32_e32 v93, v95
	;; [unrolled: 4-line block ×5, first 2 shown]
	v_fmac_f32_e32 v127, 0x3df6dbef, v71
	v_fmac_f32_e32 v124, 0xbe750f2a, v57
	v_add_f32_e32 v92, v127, v92
	v_add_f32_e32 v124, v124, v1
	v_fmac_f32_e32 v128, 0x3eedf032, v65
	v_fma_f32 v127, v45, s15, -v132
	v_add_f32_e32 v124, v128, v124
	v_add_f32_e32 v127, v127, v0
	v_fma_f32 v128, v52, s7, -v133
	v_add_f32_e32 v127, v128, v127
	v_fma_f32 v94, v56, s17, -v94
	;; [unrolled: 2-line block ×5, first 2 shown]
	v_fmac_f32_e32 v114, 0xbf29c268, v57
	v_add_f32_e32 v94, v96, v94
	v_add_f32_e32 v96, v114, v1
	v_fmac_f32_e32 v115, 0x3f7e222b, v65
	v_fma_f32 v97, v45, s17, -v119
	v_add_f32_e32 v96, v115, v96
	v_fmac_f32_e32 v116, 0xbf52af12, v70
	v_add_f32_e32 v97, v97, v0
	v_fma_f32 v114, v52, s14, -v120
	v_add_f32_e32 v96, v116, v96
	v_fmac_f32_e32 v117, 0x3e750f2a, v75
	v_add_f32_e32 v97, v114, v97
	v_fma_f32 v114, v56, s6, -v121
	v_add_f32_e32 v96, v117, v96
	v_fmac_f32_e32 v118, 0x3eedf032, v79
	v_add_f32_e32 v97, v114, v97
	v_fma_f32 v115, v62, s15, -v122
	v_fmac_f32_e32 v102, 0xbf6f5d39, v57
	v_add_f32_e32 v96, v118, v96
	v_mul_f32_e32 v114, 0x3f62ad3f, v45
	v_add_f32_e32 v97, v115, v97
	v_fma_f32 v116, v67, s7, -v123
	v_mul_f32_e32 v117, 0x3f116cb1, v45
	v_fmac_f32_e32 v125, 0xbf6f5d39, v90
	v_mul_f32_e32 v118, 0x3df6dbef, v45
	v_fmac_f32_e32 v103, 0x3f29c268, v65
	v_add_f32_e32 v57, v102, v1
	v_fma_f32 v45, v45, s16, -v108
	v_add_f32_e32 v116, v116, v97
	v_add_f32_e32 v97, v125, v96
	v_fma_f32 v96, v71, s16, -v126
	v_mul_f32_e32 v119, 0x3f116cb1, v52
	v_add_f32_e32 v57, v103, v57
	v_mul_f32_e32 v102, 0xbeb58ec6, v52
	v_mul_f32_e32 v103, 0xbf788fa5, v52
	v_fma_f32 v52, v52, s17, -v109
	v_add_f32_e32 v45, v45, v0
	v_fmac_f32_e32 v130, 0x3f52af12, v75
	v_fmac_f32_e32 v131, 0xbf6f5d39, v79
	;; [unrolled: 1-line block ×3, first 2 shown]
	v_mul_f32_e32 v115, 0x3f62ad3f, v58
	v_add_f32_e32 v96, v96, v116
	v_mul_f32_e32 v116, 0x3f116cb1, v58
	v_mul_f32_e32 v58, 0x3df6dbef, v58
	v_fmac_f32_e32 v104, 0x3eedf032, v70
	v_fmac_f32_e32 v105, 0xbf7e222b, v75
	v_mul_f32_e32 v75, 0x3df6dbef, v56
	v_fmac_f32_e32 v106, 0x3e750f2a, v79
	v_mul_f32_e32 v79, 0xbf788fa5, v56
	;; [unrolled: 2-line block ×3, first 2 shown]
	v_add_f32_e32 v45, v52, v45
	v_fma_f32 v56, v56, s7, -v110
	v_fmac_f32_e32 v129, 0xbf29c268, v70
	v_mul_f32_e32 v65, 0x3f116cb1, v59
	v_mul_f32_e32 v70, 0xbeb58ec6, v59
	v_add_f32_e32 v57, v104, v57
	v_mul_f32_e32 v59, 0xbf788fa5, v59
	v_add_f32_e32 v45, v56, v45
	v_fma_f32 v56, v62, s14, -v111
	v_add_f32_e32 v58, v81, v58
	v_add_f32_e32 v57, v105, v57
	v_mul_f32_e32 v104, 0x3df6dbef, v61
	v_mul_f32_e32 v105, 0xbf788fa5, v61
	;; [unrolled: 1-line block ×3, first 2 shown]
	v_add_f32_e32 v45, v56, v45
	v_fma_f32 v56, v67, s15, -v112
	v_add_f32_e32 v59, v82, v59
	v_add_f32_e32 v58, v58, v1
	v_mul_f32_e32 v108, 0xbeb58ec6, v63
	v_mul_f32_e32 v109, 0xbf3f9e67, v63
	;; [unrolled: 1-line block ×3, first 2 shown]
	v_add_f32_e32 v45, v56, v45
	v_fma_f32 v56, v71, s6, -v113
	v_add_f32_e32 v58, v59, v58
	v_add_f32_e32 v61, v83, v61
	v_mul_f32_e32 v111, 0xbf3f9e67, v68
	v_add_f32_e32 v56, v56, v45
	v_mul_f32_e32 v45, 0x3df6dbef, v68
	v_mul_f32_e32 v68, 0x3f116cb1, v68
	v_add_f32_e32 v58, v61, v58
	v_add_f32_e32 v61, v84, v63
	v_mul_f32_e32 v59, 0xbf3f9e67, v72
	v_add_f32_e32 v58, v61, v58
	v_add_f32_e32 v61, v89, v68
	;; [unrolled: 1-line block ×5, first 2 shown]
	v_sub_f32_e32 v58, v118, v73
	v_add_f32_e32 v33, v33, v116
	v_add_f32_e32 v58, v58, v0
	v_sub_f32_e32 v61, v103, v74
	v_add_f32_e32 v33, v33, v1
	v_add_f32_e32 v39, v39, v70
	v_mul_f32_e32 v110, 0x3f62ad3f, v62
	v_add_f32_e32 v58, v61, v58
	v_sub_f32_e32 v61, v90, v76
	v_add_f32_e32 v33, v39, v33
	v_add_f32_e32 v39, v43, v105
	;; [unrolled: 1-line block ×3, first 2 shown]
	v_mul_f32_e32 v106, 0xbeb58ec6, v62
	v_mul_f32_e32 v52, 0xbf3f9e67, v62
	;; [unrolled: 1-line block ×5, first 2 shown]
	v_add_f32_e32 v58, v61, v58
	v_sub_f32_e32 v61, v110, v77
	v_add_f32_e32 v33, v39, v33
	v_add_f32_e32 v39, v50, v109
	;; [unrolled: 1-line block ×3, first 2 shown]
	v_mul_f32_e32 v107, 0xbf788fa5, v71
	v_mul_f32_e32 v82, 0x3f62ad3f, v71
	;; [unrolled: 1-line block ×4, first 2 shown]
	v_add_f32_e32 v58, v61, v58
	v_sub_f32_e32 v61, v67, v78
	v_add_f32_e32 v33, v39, v33
	v_add_f32_e32 v39, v64, v45
	v_sub_f32_e32 v31, v117, v31
	v_add_f32_e32 v29, v29, v115
	v_sub_f32_e32 v28, v114, v28
	;; [unrolled: 2-line block ×3, first 2 shown]
	v_add_f32_e32 v33, v39, v33
	v_add_f32_e32 v39, v69, v113
	;; [unrolled: 1-line block ×9, first 2 shown]
	v_sub_f32_e32 v33, v102, v35
	v_add_f32_e32 v1, v5, v1
	v_add_f32_e32 v0, v4, v0
	v_add_f32_e32 v31, v33, v31
	v_sub_f32_e32 v33, v79, v41
	v_add_f32_e32 v1, v7, v1
	v_add_f32_e32 v0, v6, v0
	v_add_f32_e32 v31, v33, v31
	;; [unrolled: 4-line block ×5, first 2 shown]
	v_add_f32_e32 v31, v32, v65
	v_sub_f32_e32 v30, v119, v30
	v_add_f32_e32 v1, v15, v1
	v_add_f32_e32 v0, v14, v0
	;; [unrolled: 1-line block ×5, first 2 shown]
	v_sub_f32_e32 v30, v75, v34
	v_add_f32_e32 v1, v17, v1
	v_add_f32_e32 v0, v16, v0
	;; [unrolled: 1-line block ×5, first 2 shown]
	v_sub_f32_e32 v30, v106, v40
	v_add_f32_e32 v1, v19, v1
	v_add_f32_e32 v0, v18, v0
	;; [unrolled: 1-line block ×3, first 2 shown]
	v_mul_f32_e32 v81, 0xbf788fa5, v72
	v_add_f32_e32 v29, v31, v29
	v_add_f32_e32 v31, v49, v111
	;; [unrolled: 1-line block ×3, first 2 shown]
	v_sub_f32_e32 v30, v62, v44
	v_add_f32_e32 v1, v21, v1
	v_add_f32_e32 v0, v20, v0
	;; [unrolled: 1-line block ×6, first 2 shown]
	v_sub_f32_e32 v30, v107, v51
	v_add_f32_e32 v1, v23, v1
	v_add_f32_e32 v0, v22, v0
	;; [unrolled: 1-line block ×7, first 2 shown]
	v_add_lshl_u32 v2, v54, v88, 3
	v_add_f32_e32 v95, v134, v124
	ds_write2_b64 v2, v[0:1], v[28:29] offset1:1
	ds_write2_b64 v2, v[60:61], v[58:59] offset0:2 offset1:3
	ds_write2_b64 v2, v[56:57], v[96:97] offset0:4 offset1:5
	;; [unrolled: 1-line block ×5, first 2 shown]
	ds_write_b64 v2, v[24:25] offset:96
.LBB0_7:
	s_or_b64 exec, exec, s[4:5]
	v_add_co_u32_e32 v48, vcc, 0x5b, v85
	s_movk_i32 s14, 0x111
	s_load_dwordx4 s[4:7], s[2:3], 0x0
	s_mov_b64 s[2:3], vcc
	v_add_co_u32_e32 v3, vcc, s14, v85
	s_movk_i32 s14, 0x16c
	v_add_co_u32_e32 v4, vcc, s14, v85
	s_movk_i32 s14, 0x4f
	v_mul_lo_u16_sdwa v1, v85, s14 dst_sel:DWORD dst_unused:UNUSED_PAD src0_sel:BYTE_0 src1_sel:DWORD
	v_lshrrev_b16_e32 v30, 10, v1
	v_mul_lo_u16_e32 v0, 13, v30
	v_sub_u16_e32 v31, v85, v0
	v_mul_lo_u16_sdwa v0, v48, s14 dst_sel:DWORD dst_unused:UNUSED_PAD src0_sel:BYTE_0 src1_sel:DWORD
	v_lshrrev_b16_e32 v32, 10, v0
	v_add_co_u32_e32 v2, vcc, 0xb6, v85
	v_mul_lo_u16_e32 v7, 13, v32
	s_movk_i32 s14, 0x4ec5
	v_sub_u16_e32 v33, v48, v7
	v_mul_u32_u24_sdwa v7, v2, s14 dst_sel:DWORD dst_unused:UNUSED_PAD src0_sel:WORD_0 src1_sel:DWORD
	v_lshrrev_b32_e32 v38, 18, v7
	v_mul_lo_u16_e32 v7, 13, v38
	v_mov_b32_e32 v5, 3
	v_sub_u16_e32 v39, v2, v7
	v_mul_u32_u24_sdwa v7, v3, s14 dst_sel:DWORD dst_unused:UNUSED_PAD src0_sel:WORD_0 src1_sel:DWORD
	v_lshlrev_b32_sdwa v6, v5, v31 dst_sel:DWORD dst_unused:UNUSED_PAD src0_sel:DWORD src1_sel:BYTE_0
	v_lshlrev_b32_sdwa v5, v5, v33 dst_sel:DWORD dst_unused:UNUSED_PAD src0_sel:DWORD src1_sel:BYTE_0
	v_lshrrev_b32_e32 v40, 18, v7
	s_waitcnt lgkmcnt(0)
	s_barrier
	global_load_dwordx2 v[75:76], v6, s[12:13]
	global_load_dwordx2 v[71:72], v5, s[12:13]
	v_mul_lo_u16_e32 v6, 13, v40
	v_lshlrev_b32_e32 v2, 3, v39
	v_sub_u16_e32 v41, v3, v6
	v_lshlrev_b32_e32 v3, 3, v41
	global_load_dwordx2 v[69:70], v2, s[12:13]
	global_load_dwordx2 v[67:68], v3, s[12:13]
	v_mul_u32_u24_sdwa v2, v4, s14 dst_sel:DWORD dst_unused:UNUSED_PAD src0_sel:WORD_0 src1_sel:DWORD
	v_lshrrev_b32_e32 v42, 18, v2
	v_mul_lo_u16_e32 v2, 13, v42
	v_sub_u16_e32 v43, v4, v2
	v_lshlrev_b32_e32 v2, 3, v43
	global_load_dwordx2 v[73:74], v2, s[12:13]
	v_add_lshl_u32 v89, v54, v85, 3
	v_add_u32_e32 v3, 0x800, v89
	v_add_u32_e32 v2, 0x1000, v89
	v_add_u32_e32 v16, 0x400, v89
	v_add_u32_e32 v20, 0x1400, v89
	ds_read2_b64 v[4:7], v89 offset1:91
	ds_read2_b64 v[8:11], v3 offset0:108 offset1:199
	ds_read2_b64 v[12:15], v2 offset0:34 offset1:125
	;; [unrolled: 1-line block ×4, first 2 shown]
	s_waitcnt vmcnt(0) lgkmcnt(0)
	s_barrier
	v_addc_co_u32_e64 v49, s[2:3], 0, 0, s[2:3]
	v_cmp_gt_u16_e64 s[2:3], 39, v85
                                        ; implicit-def: $vgpr52
	v_mul_f32_e32 v27, v10, v76
	v_mul_f32_e32 v28, v13, v72
	;; [unrolled: 1-line block ×3, first 2 shown]
	v_fma_f32 v12, v12, v71, -v28
	v_fmac_f32_e32 v29, v13, v71
	v_mul_f32_e32 v26, v11, v76
	v_mul_f32_e32 v28, v20, v68
	;; [unrolled: 1-line block ×3, first 2 shown]
	v_fmac_f32_e32 v28, v21, v67
	v_fmac_f32_e32 v27, v11, v75
	v_mul_f32_e32 v11, v15, v70
	v_fma_f32 v10, v10, v75, -v26
	v_mul_f32_e32 v34, v23, v74
	v_fma_f32 v21, v22, v73, -v34
	v_sub_f32_e32 v34, v8, v21
	v_mul_f32_e32 v26, v14, v70
	v_fma_f32 v14, v14, v69, -v11
	v_sub_f32_e32 v11, v5, v27
	v_sub_f32_e32 v27, v19, v28
	v_fma_f32 v28, v8, 2.0, -v34
	v_mul_u32_u24_e32 v8, 26, v30
	v_sub_f32_e32 v10, v4, v10
	v_add_u32_sdwa v8, v8, v31 dst_sel:DWORD dst_unused:UNUSED_PAD src0_sel:DWORD src1_sel:BYTE_0
	v_fma_f32 v4, v4, 2.0, -v10
	v_fma_f32 v5, v5, 2.0, -v11
	v_add_lshl_u32 v93, v54, v8, 3
	ds_write2_b64 v93, v[4:5], v[10:11] offset1:13
	v_mul_u32_u24_e32 v4, 26, v32
	v_add_u32_sdwa v4, v4, v33 dst_sel:DWORD dst_unused:UNUSED_PAD src0_sel:DWORD src1_sel:BYTE_0
	v_mul_f32_e32 v35, v22, v74
	v_add_lshl_u32 v94, v54, v4, 3
	v_mad_legacy_u16 v4, v38, 26, v39
	v_fmac_f32_e32 v26, v15, v69
	v_fma_f32 v20, v20, v67, -v13
	v_fmac_f32_e32 v35, v23, v73
	v_add_lshl_u32 v95, v54, v4, 3
	v_mad_legacy_u16 v4, v40, 26, v41
	v_sub_f32_e32 v12, v6, v12
	v_sub_f32_e32 v13, v7, v29
	;; [unrolled: 1-line block ×6, first 2 shown]
	v_add_lshl_u32 v96, v54, v4, 3
	v_mad_legacy_u16 v4, v42, 26, v43
	v_fma_f32 v6, v6, 2.0, -v12
	v_fma_f32 v7, v7, 2.0, -v13
	;; [unrolled: 1-line block ×7, first 2 shown]
	v_add_lshl_u32 v97, v54, v4, 3
	ds_write2_b64 v94, v[6:7], v[12:13] offset1:13
	ds_write2_b64 v95, v[16:17], v[14:15] offset1:13
	;; [unrolled: 1-line block ×4, first 2 shown]
	s_waitcnt lgkmcnt(0)
	s_barrier
	ds_read2_b64 v[30:33], v89 offset1:130
	ds_read2_b64 v[42:45], v3 offset0:4 offset1:134
	ds_read2_b64 v[38:41], v2 offset0:8 offset1:138
	ds_read_b64 v[50:51], v89 offset:6240
	s_and_saveexec_b64 s[14:15], s[2:3]
	s_cbranch_execz .LBB0_9
; %bb.8:
	ds_read2_b64 v[34:37], v3 offset0:95 offset1:225
	ds_read2_b64 v[22:25], v2 offset0:99 offset1:229
	;; [unrolled: 1-line block ×3, first 2 shown]
	ds_read_b64 v[52:53], v89 offset:6968
	s_waitcnt lgkmcnt(3)
	v_mov_b32_e32 v46, v36
	v_mov_b32_e32 v47, v37
	s_waitcnt lgkmcnt(2)
	v_mov_b32_e32 v36, v22
	v_mov_b32_e32 v37, v23
.LBB0_9:
	s_or_b64 exec, exec, s[14:15]
	v_lshrrev_b16_e32 v59, 11, v1
	v_mul_lo_u16_e32 v1, 26, v59
	v_sub_u16_e32 v1, v85, v1
	v_and_b32_e32 v60, 0xff, v1
	v_lshrrev_b16_e32 v91, 11, v0
	v_mad_u64_u32 v[55:56], s[14:15], v60, 48, s[12:13]
	v_mul_lo_u16_e32 v0, 26, v91
	v_sub_u16_e32 v0, v48, v0
	v_and_b32_e32 v92, 0xff, v0
	v_mad_u64_u32 v[57:58], s[14:15], v92, 48, s[12:13]
	global_load_dwordx4 v[16:19], v[55:56], off offset:104
	global_load_dwordx4 v[12:15], v[55:56], off offset:120
	;; [unrolled: 1-line block ×6, first 2 shown]
	s_mov_b32 s14, 0x3f5ff5aa
	s_mov_b32 s15, 0x3f3bfb3b
	;; [unrolled: 1-line block ×4, first 2 shown]
	s_waitcnt vmcnt(0) lgkmcnt(0)
	s_barrier
	v_mul_f32_e32 v65, v41, v21
	v_mul_f32_e32 v55, v33, v17
	v_mul_f32_e32 v56, v32, v17
	v_mul_f32_e32 v57, v43, v19
	v_mul_f32_e32 v64, v38, v15
	v_mul_f32_e32 v78, v51, v23
	v_mul_f32_e32 v58, v42, v19
	v_mul_f32_e32 v61, v45, v13
	v_mul_f32_e32 v63, v39, v15
	v_mul_f32_e32 v77, v40, v21
	v_mul_f32_e32 v79, v50, v23
	v_mul_f32_e32 v81, v28, v1
	v_mul_f32_e32 v82, v35, v3
	v_mul_f32_e32 v99, v36, v11
	v_fma_f32 v32, v32, v16, -v55
	v_fmac_f32_e32 v56, v33, v16
	v_fma_f32 v33, v42, v18, -v57
	v_fmac_f32_e32 v64, v39, v14
	v_fma_f32 v39, v40, v20, -v65
	v_fma_f32 v40, v50, v22, -v78
	v_mul_f32_e32 v62, v44, v13
	v_mul_f32_e32 v80, v29, v1
	;; [unrolled: 1-line block ×5, first 2 shown]
	v_fmac_f32_e32 v58, v43, v18
	v_fma_f32 v42, v44, v12, -v61
	v_fma_f32 v38, v38, v14, -v63
	v_fmac_f32_e32 v77, v41, v20
	v_fmac_f32_e32 v79, v51, v22
	;; [unrolled: 1-line block ×3, first 2 shown]
	v_fma_f32 v29, v34, v2, -v82
	v_fmac_f32_e32 v99, v37, v10
	v_add_f32_e32 v34, v32, v40
	v_add_f32_e32 v37, v33, v39
	v_mul_f32_e32 v90, v46, v9
	v_mul_f32_e32 v101, v24, v5
	;; [unrolled: 1-line block ×3, first 2 shown]
	v_fmac_f32_e32 v62, v45, v12
	v_fmac_f32_e32 v83, v35, v2
	v_fma_f32 v43, v46, v8, -v84
	v_add_f32_e32 v35, v56, v79
	v_sub_f32_e32 v32, v32, v40
	v_add_f32_e32 v40, v58, v77
	v_sub_f32_e32 v33, v33, v39
	;; [unrolled: 2-line block ×3, first 2 shown]
	v_add_f32_e32 v46, v37, v34
	v_mul_f32_e32 v100, v25, v5
	v_mul_f32_e32 v103, v52, v7
	v_fmac_f32_e32 v90, v47, v8
	v_fmac_f32_e32 v101, v25, v4
	v_fma_f32 v25, v52, v6, -v102
	v_sub_f32_e32 v39, v58, v77
	v_add_f32_e32 v45, v62, v64
	v_sub_f32_e32 v42, v64, v62
	v_add_f32_e32 v47, v40, v35
	v_sub_f32_e32 v50, v37, v34
	v_sub_f32_e32 v52, v34, v41
	;; [unrolled: 1-line block ×3, first 2 shown]
	v_add_f32_e32 v34, v38, v33
	v_add_f32_e32 v41, v41, v46
	v_fma_f32 v44, v36, v10, -v98
	v_fmac_f32_e32 v103, v53, v6
	v_sub_f32_e32 v36, v56, v79
	v_sub_f32_e32 v51, v40, v35
	;; [unrolled: 1-line block ×4, first 2 shown]
	v_add_f32_e32 v35, v42, v39
	v_sub_f32_e32 v55, v38, v33
	v_sub_f32_e32 v56, v42, v39
	;; [unrolled: 1-line block ×4, first 2 shown]
	v_add_f32_e32 v45, v45, v47
	v_add_f32_e32 v32, v34, v32
	;; [unrolled: 1-line block ×3, first 2 shown]
	v_sub_f32_e32 v42, v36, v42
	v_sub_f32_e32 v39, v39, v36
	v_add_f32_e32 v36, v35, v36
	v_add_f32_e32 v35, v31, v45
	v_mul_f32_e32 v57, 0xbf08b237, v55
	v_mul_f32_e32 v55, 0xbf08b237, v56
	v_mov_b32_e32 v56, v34
	v_mul_f32_e32 v30, 0x3f4a47b2, v52
	v_mul_f32_e32 v46, 0x3d64c772, v37
	;; [unrolled: 1-line block ×3, first 2 shown]
	v_fmac_f32_e32 v56, 0xbf955555, v41
	v_mov_b32_e32 v41, v35
	v_mul_f32_e32 v31, 0x3f4a47b2, v53
	v_mul_f32_e32 v52, 0x3f5ff5aa, v33
	;; [unrolled: 1-line block ×3, first 2 shown]
	v_fmac_f32_e32 v41, 0xbf955555, v45
	v_fma_f32 v45, v50, s15, -v46
	v_fma_f32 v46, v51, s15, -v47
	;; [unrolled: 1-line block ×3, first 2 shown]
	v_fmac_f32_e32 v30, 0x3d64c772, v37
	v_fma_f32 v50, v39, s14, -v55
	v_fmac_f32_e32 v55, 0x3eae86e6, v42
	v_fma_f32 v28, v28, v0, -v80
	v_fma_f32 v24, v24, v4, -v100
	;; [unrolled: 1-line block ×3, first 2 shown]
	v_fmac_f32_e32 v31, 0x3d64c772, v40
	v_fma_f32 v33, v33, s14, -v57
	v_fmac_f32_e32 v57, 0x3eae86e6, v38
	v_fma_f32 v58, v38, s17, -v52
	v_fma_f32 v42, v42, s17, -v53
	v_add_f32_e32 v30, v30, v56
	v_fmac_f32_e32 v55, 0x3ee1c552, v36
	v_add_f32_e32 v31, v31, v41
	v_add_f32_e32 v46, v46, v41
	;; [unrolled: 1-line block ×3, first 2 shown]
	v_fmac_f32_e32 v57, 0x3ee1c552, v32
	v_fmac_f32_e32 v33, 0x3ee1c552, v32
	;; [unrolled: 1-line block ×5, first 2 shown]
	v_add_f32_e32 v36, v55, v30
	v_sub_f32_e32 v55, v30, v55
	v_add_f32_e32 v30, v28, v25
	v_add_f32_e32 v32, v29, v24
	v_add_f32_e32 v45, v45, v56
	v_add_f32_e32 v53, v37, v41
	v_sub_f32_e32 v37, v31, v57
	v_add_f32_e32 v38, v42, v47
	v_add_f32_e32 v41, v33, v46
	v_sub_f32_e32 v51, v46, v33
	v_sub_f32_e32 v52, v47, v42
	v_add_f32_e32 v56, v57, v31
	v_add_f32_e32 v31, v81, v103
	;; [unrolled: 1-line block ×5, first 2 shown]
	v_sub_f32_e32 v40, v45, v50
	v_add_f32_e32 v50, v50, v45
	v_sub_f32_e32 v25, v28, v25
	v_sub_f32_e32 v24, v29, v24
	;; [unrolled: 1-line block ×3, first 2 shown]
	v_add_f32_e32 v45, v90, v99
	v_sub_f32_e32 v43, v44, v43
	v_sub_f32_e32 v44, v99, v90
	v_add_f32_e32 v47, v33, v31
	v_sub_f32_e32 v57, v32, v30
	v_sub_f32_e32 v30, v30, v42
	;; [unrolled: 1-line block ×3, first 2 shown]
	v_add_f32_e32 v42, v42, v46
	v_sub_f32_e32 v39, v53, v58
	v_add_f32_e32 v53, v58, v53
	v_sub_f32_e32 v58, v33, v31
	v_sub_f32_e32 v31, v31, v45
	;; [unrolled: 1-line block ×3, first 2 shown]
	v_add_f32_e32 v61, v43, v24
	v_sub_f32_e32 v63, v43, v24
	v_sub_f32_e32 v64, v44, v29
	v_sub_f32_e32 v65, v24, v25
	v_add_f32_e32 v45, v45, v47
	v_add_f32_e32 v24, v26, v42
	v_sub_f32_e32 v28, v81, v103
	v_add_f32_e32 v62, v44, v29
	v_sub_f32_e32 v43, v25, v43
	v_add_f32_e32 v46, v61, v25
	v_add_f32_e32 v25, v27, v45
	v_mul_f32_e32 v27, 0xbf08b237, v64
	v_mov_b32_e32 v64, v24
	v_sub_f32_e32 v44, v28, v44
	v_sub_f32_e32 v29, v29, v28
	v_add_f32_e32 v47, v62, v28
	v_mul_f32_e32 v28, 0x3f4a47b2, v30
	v_mul_f32_e32 v30, 0x3d64c772, v32
	v_fmac_f32_e32 v64, 0xbf955555, v42
	v_mov_b32_e32 v42, v25
	v_mul_f32_e32 v31, 0x3f4a47b2, v31
	v_mul_f32_e32 v61, 0x3d64c772, v33
	;; [unrolled: 1-line block ×5, first 2 shown]
	v_fmac_f32_e32 v42, 0xbf955555, v45
	v_fma_f32 v45, v57, s15, -v30
	v_fma_f32 v57, v57, s16, -v28
	;; [unrolled: 1-line block ×3, first 2 shown]
	v_fmac_f32_e32 v28, 0x3d64c772, v32
	v_fma_f32 v58, v58, s16, -v31
	v_fmac_f32_e32 v31, 0x3d64c772, v33
	v_fma_f32 v65, v65, s14, -v26
	;; [unrolled: 2-line block ×4, first 2 shown]
	v_fma_f32 v30, v44, s17, -v63
	v_add_f32_e32 v32, v57, v64
	v_mul_u32_u24_e32 v57, 0xb6, v59
	v_add_f32_e32 v28, v28, v64
	v_add_f32_e32 v31, v31, v42
	;; [unrolled: 1-line block ×5, first 2 shown]
	v_fmac_f32_e32 v26, 0x3ee1c552, v46
	v_fmac_f32_e32 v27, 0x3ee1c552, v47
	;; [unrolled: 1-line block ×6, first 2 shown]
	v_add_u32_e32 v57, v57, v60
	v_sub_f32_e32 v42, v44, v77
	v_add_f32_e32 v43, v65, v45
	v_add_f32_e32 v44, v77, v44
	v_sub_f32_e32 v45, v45, v65
	v_sub_f32_e32 v46, v32, v30
	v_add_f32_e32 v47, v29, v33
	v_sub_f32_e32 v77, v28, v27
	v_add_f32_e32 v78, v26, v31
	v_add_lshl_u32 v98, v54, v57, 3
	ds_write2_b64 v98, v[34:35], v[36:37] offset1:26
	ds_write2_b64 v98, v[38:39], v[40:41] offset0:52 offset1:78
	ds_write2_b64 v98, v[50:51], v[52:53] offset0:104 offset1:130
	ds_write_b64 v98, v[55:56] offset:1248
	s_and_saveexec_b64 s[14:15], s[2:3]
	s_cbranch_execz .LBB0_11
; %bb.10:
	s_movk_i32 s16, 0x4f
	v_sub_f32_e32 v33, v33, v29
	v_sub_f32_e32 v29, v31, v26
	v_mul_lo_u16_sdwa v26, v48, s16 dst_sel:DWORD dst_unused:UNUSED_PAD src0_sel:BYTE_0 src1_sel:DWORD
	v_lshrrev_b16_e32 v26, 11, v26
	v_mul_u32_u24_e32 v26, 0xb6, v26
	v_add_u32_e32 v26, v26, v92
	v_add_f32_e32 v28, v27, v28
	v_add_lshl_u32 v26, v54, v26, 3
	v_add_f32_e32 v32, v30, v32
	ds_write2_b64 v26, v[24:25], v[28:29] offset1:26
	ds_write2_b64 v26, v[32:33], v[42:43] offset0:52 offset1:78
	ds_write2_b64 v26, v[44:45], v[46:47] offset0:104 offset1:130
	ds_write_b64 v26, v[77:78] offset:1248
.LBB0_11:
	s_or_b64 exec, exec, s[14:15]
	v_lshlrev_b32_e32 v32, 5, v85
	s_waitcnt lgkmcnt(0)
	s_barrier
	global_load_dwordx4 v[28:31], v32, s[12:13] offset:1352
	global_load_dwordx4 v[24:27], v32, s[12:13] offset:1368
	v_lshlrev_b64 v[32:33], 5, v[48:49]
	v_mov_b32_e32 v34, s13
	v_add_co_u32_e32 v40, vcc, s12, v32
	v_addc_co_u32_e32 v41, vcc, v34, v33, vcc
	global_load_dwordx4 v[36:39], v[40:41], off offset:1352
	global_load_dwordx4 v[32:35], v[40:41], off offset:1368
	v_add_u32_e32 v40, 0x400, v89
	v_add_u32_e32 v41, 0x800, v89
	;; [unrolled: 1-line block ×3, first 2 shown]
	ds_read2_b64 v[48:51], v89 offset1:91
	ds_read2_b64 v[52:55], v40 offset0:54 offset1:145
	v_add_u32_e32 v40, 0x1400, v89
	ds_read2_b64 v[56:59], v41 offset0:108 offset1:199
	ds_read2_b64 v[60:63], v60 offset0:34 offset1:125
	;; [unrolled: 1-line block ×3, first 2 shown]
	s_waitcnt vmcnt(3) lgkmcnt(3)
	v_mul_f32_e32 v40, v53, v29
	v_mul_f32_e32 v41, v52, v29
	s_waitcnt vmcnt(2) lgkmcnt(0)
	v_mul_f32_e32 v90, v80, v27
	v_mul_f32_e32 v64, v57, v31
	v_fma_f32 v40, v52, v28, -v40
	v_fmac_f32_e32 v41, v53, v28
	v_fma_f32 v53, v79, v26, -v90
	v_mul_f32_e32 v65, v56, v31
	v_mul_f32_e32 v84, v60, v25
	v_fma_f32 v64, v56, v30, -v64
	s_waitcnt vmcnt(1)
	v_mul_f32_e32 v56, v59, v39
	v_add_f32_e32 v106, v40, v53
	v_mul_f32_e32 v83, v61, v25
	v_mul_f32_e32 v99, v79, v27
	v_fmac_f32_e32 v65, v57, v30
	v_fmac_f32_e32 v84, v61, v24
	v_mul_f32_e32 v52, v55, v37
	v_fma_f32 v111, v58, v38, -v56
	v_fma_f32 v56, -0.5, v106, v48
	v_fma_f32 v57, v60, v24, -v83
	v_fmac_f32_e32 v99, v80, v26
	v_mul_f32_e32 v83, v54, v37
	v_sub_f32_e32 v103, v65, v84
	v_fma_f32 v110, v54, v36, -v52
	v_mov_b32_e32 v54, v56
	v_mul_f32_e32 v90, v58, v39
	v_add_f32_e32 v79, v48, v40
	v_add_f32_e32 v80, v64, v57
	v_sub_f32_e32 v102, v41, v99
	v_sub_f32_e32 v107, v64, v40
	;; [unrolled: 1-line block ×3, first 2 shown]
	v_add_f32_e32 v109, v49, v41
	v_fmac_f32_e32 v56, 0x3f737871, v103
	v_fmac_f32_e32 v54, 0xbf737871, v103
	s_waitcnt vmcnt(0)
	v_mul_f32_e32 v60, v63, v33
	v_fmac_f32_e32 v90, v59, v38
	v_add_f32_e32 v52, v79, v64
	v_fma_f32 v58, -0.5, v80, v48
	v_add_f32_e32 v48, v107, v108
	v_add_f32_e32 v59, v109, v65
	v_fmac_f32_e32 v56, 0xbf167918, v102
	v_fmac_f32_e32 v54, 0x3f167918, v102
	v_fma_f32 v112, v62, v32, -v60
	v_add_f32_e32 v60, v52, v57
	v_mov_b32_e32 v52, v58
	v_add_f32_e32 v59, v59, v84
	v_fmac_f32_e32 v56, 0x3e9e377a, v48
	v_fmac_f32_e32 v54, 0x3e9e377a, v48
	v_add_f32_e32 v48, v65, v84
	v_sub_f32_e32 v104, v40, v64
	v_sub_f32_e32 v105, v53, v57
	v_fmac_f32_e32 v58, 0xbf737871, v102
	v_fmac_f32_e32 v52, 0x3f737871, v102
	v_add_f32_e32 v80, v59, v99
	v_fma_f32 v59, -0.5, v48, v49
	v_fmac_f32_e32 v83, v55, v36
	v_add_f32_e32 v55, v104, v105
	v_add_f32_e32 v79, v60, v53
	v_fmac_f32_e32 v58, 0xbf167918, v103
	v_fmac_f32_e32 v52, 0x3f167918, v103
	v_sub_f32_e32 v40, v40, v53
	v_mov_b32_e32 v53, v59
	v_fmac_f32_e32 v58, 0x3e9e377a, v55
	v_fmac_f32_e32 v52, 0x3e9e377a, v55
	;; [unrolled: 1-line block ×3, first 2 shown]
	v_sub_f32_e32 v48, v64, v57
	v_sub_f32_e32 v55, v41, v65
	;; [unrolled: 1-line block ×3, first 2 shown]
	v_fmac_f32_e32 v59, 0x3f737871, v40
	v_fmac_f32_e32 v53, 0xbf167918, v48
	v_add_f32_e32 v55, v55, v57
	v_fmac_f32_e32 v59, 0x3f167918, v48
	v_fmac_f32_e32 v53, 0x3e9e377a, v55
	;; [unrolled: 1-line block ×3, first 2 shown]
	v_add_f32_e32 v55, v41, v99
	v_fma_f32 v57, -0.5, v55, v49
	v_mov_b32_e32 v55, v57
	v_fmac_f32_e32 v55, 0x3f737871, v48
	v_fmac_f32_e32 v57, 0xbf737871, v48
	;; [unrolled: 1-line block ×4, first 2 shown]
	v_add_f32_e32 v40, v50, v110
	v_mul_f32_e32 v100, v62, v33
	v_mul_f32_e32 v61, v82, v35
	v_add_f32_e32 v40, v40, v111
	v_fmac_f32_e32 v100, v63, v32
	v_fma_f32 v63, v81, v34, -v61
	v_add_f32_e32 v40, v40, v112
	v_mul_f32_e32 v101, v81, v35
	v_sub_f32_e32 v41, v65, v41
	v_sub_f32_e32 v49, v84, v99
	v_add_f32_e32 v60, v40, v63
	v_add_f32_e32 v40, v111, v112
	v_fmac_f32_e32 v101, v82, v34
	v_add_f32_e32 v41, v41, v49
	v_fma_f32 v40, -0.5, v40, v50
	v_fmac_f32_e32 v55, 0x3e9e377a, v41
	v_fmac_f32_e32 v57, 0x3e9e377a, v41
	v_sub_f32_e32 v41, v83, v101
	v_mov_b32_e32 v62, v40
	v_fmac_f32_e32 v62, 0x3f737871, v41
	v_sub_f32_e32 v49, v90, v100
	v_sub_f32_e32 v48, v110, v111
	v_sub_f32_e32 v61, v63, v112
	v_fmac_f32_e32 v40, 0xbf737871, v41
	v_fmac_f32_e32 v62, 0x3f167918, v49
	v_add_f32_e32 v48, v48, v61
	v_fmac_f32_e32 v40, 0xbf167918, v49
	v_fmac_f32_e32 v62, 0x3e9e377a, v48
	;; [unrolled: 1-line block ×3, first 2 shown]
	v_add_f32_e32 v48, v110, v63
	v_fma_f32 v50, -0.5, v48, v50
	v_mov_b32_e32 v48, v50
	v_fmac_f32_e32 v48, 0xbf737871, v49
	v_fmac_f32_e32 v50, 0x3f737871, v49
	;; [unrolled: 1-line block ×4, first 2 shown]
	v_add_f32_e32 v41, v51, v83
	v_sub_f32_e32 v61, v111, v110
	v_sub_f32_e32 v64, v112, v63
	v_add_f32_e32 v41, v41, v90
	v_add_f32_e32 v61, v61, v64
	;; [unrolled: 1-line block ×3, first 2 shown]
	v_fmac_f32_e32 v48, 0x3e9e377a, v61
	v_fmac_f32_e32 v50, 0x3e9e377a, v61
	v_add_f32_e32 v61, v41, v101
	v_add_f32_e32 v41, v90, v100
	v_fma_f32 v41, -0.5, v41, v51
	v_sub_f32_e32 v64, v110, v63
	v_mov_b32_e32 v63, v41
	v_fmac_f32_e32 v63, 0xbf737871, v64
	v_sub_f32_e32 v65, v111, v112
	v_sub_f32_e32 v49, v83, v90
	;; [unrolled: 1-line block ×3, first 2 shown]
	v_fmac_f32_e32 v41, 0x3f737871, v64
	v_fmac_f32_e32 v63, 0xbf167918, v65
	v_add_f32_e32 v49, v49, v81
	v_fmac_f32_e32 v41, 0x3f167918, v65
	v_fmac_f32_e32 v63, 0x3e9e377a, v49
	;; [unrolled: 1-line block ×3, first 2 shown]
	v_add_f32_e32 v49, v83, v101
	v_fmac_f32_e32 v51, -0.5, v49
	v_mov_b32_e32 v49, v51
	v_fmac_f32_e32 v49, 0x3f737871, v65
	v_sub_f32_e32 v81, v90, v83
	v_sub_f32_e32 v82, v100, v101
	v_fmac_f32_e32 v51, 0xbf737871, v65
	v_fmac_f32_e32 v49, 0xbf167918, v64
	v_add_f32_e32 v81, v81, v82
	v_fmac_f32_e32 v51, 0x3f167918, v64
	v_lshl_add_u32 v90, v85, 3, v87
	v_fmac_f32_e32 v49, 0x3e9e377a, v81
	v_fmac_f32_e32 v51, 0x3e9e377a, v81
	v_add_u32_e32 v64, 0x800, v90
	v_add_u32_e32 v65, 0xc00, v90
	;; [unrolled: 1-line block ×3, first 2 shown]
	ds_write_b64 v90, v[79:80]
	ds_write2_b64 v90, v[60:61], v[52:53] offset0:91 offset1:182
	ds_write2_b64 v64, v[62:63], v[54:55] offset0:17 offset1:108
	;; [unrolled: 1-line block ×4, first 2 shown]
	ds_write_b64 v90, v[40:41] offset:6552
	s_waitcnt lgkmcnt(0)
	s_barrier
	s_and_saveexec_b64 s[12:13], s[0:1]
	s_cbranch_execz .LBB0_13
; %bb.12:
	v_mov_b32_e32 v82, s11
	v_add_co_u32_e32 v84, vcc, s10, v86
	v_addc_co_u32_e32 v103, vcc, 0, v82, vcc
	v_add_co_u32_e32 v82, vcc, 0x1c70, v84
	v_addc_co_u32_e32 v83, vcc, 0, v103, vcc
	;; [unrolled: 2-line block ×3, first 2 shown]
	s_movk_i32 s14, 0x2000
	global_load_dwordx2 v[101:102], v[99:100], off offset:3184
	global_load_dwordx2 v[123:124], v[82:83], off offset:560
	;; [unrolled: 1-line block ×8, first 2 shown]
	v_add_co_u32_e32 v82, vcc, s14, v84
	v_addc_co_u32_e32 v83, vcc, 0, v103, vcc
	s_movk_i32 s14, 0x3000
	v_add_co_u32_e32 v99, vcc, s14, v84
	global_load_dwordx2 v[82:83], v[82:83], off offset:3568
	v_addc_co_u32_e32 v100, vcc, 0, v103, vcc
	global_load_dwordx2 v[137:138], v[99:100], off offset:32
	global_load_dwordx2 v[139:140], v[99:100], off offset:592
	;; [unrolled: 1-line block ×4, first 2 shown]
	ds_read_b64 v[99:100], v90
	v_add_u32_e32 v147, 0x400, v90
	v_add_u32_e32 v148, 0x1800, v90
	s_waitcnt vmcnt(12) lgkmcnt(0)
	v_mul_f32_e32 v84, v100, v102
	v_mul_f32_e32 v103, v99, v102
	v_fma_f32 v102, v99, v101, -v84
	v_fmac_f32_e32 v103, v100, v101
	ds_write_b64 v90, v[102:103]
	ds_read2_b64 v[99:102], v90 offset0:70 offset1:140
	ds_read2_b64 v[103:106], v147 offset0:82 offset1:152
	;; [unrolled: 1-line block ×6, first 2 shown]
	s_waitcnt vmcnt(11) lgkmcnt(5)
	v_mul_f32_e32 v145, v100, v124
	v_mul_f32_e32 v84, v99, v124
	s_waitcnt vmcnt(10)
	v_mul_f32_e32 v149, v102, v126
	v_mul_f32_e32 v124, v101, v126
	s_waitcnt vmcnt(9) lgkmcnt(4)
	v_mul_f32_e32 v150, v104, v128
	v_mul_f32_e32 v126, v103, v128
	s_waitcnt vmcnt(8)
	v_mul_f32_e32 v151, v106, v130
	v_mul_f32_e32 v128, v105, v130
	s_waitcnt vmcnt(7) lgkmcnt(3)
	v_mul_f32_e32 v152, v108, v132
	s_waitcnt vmcnt(3) lgkmcnt(1)
	v_mul_f32_e32 v156, v116, v138
	v_mul_f32_e32 v146, v115, v138
	s_waitcnt vmcnt(2)
	v_mul_f32_e32 v157, v118, v140
	v_mul_f32_e32 v138, v117, v140
	;; [unrolled: 1-line block ×9, first 2 shown]
	v_fma_f32 v83, v99, v123, -v145
	v_fmac_f32_e32 v84, v100, v123
	v_fma_f32 v123, v101, v125, -v149
	v_fmac_f32_e32 v124, v102, v125
	;; [unrolled: 2-line block ×10, first 2 shown]
	ds_write2_b64 v90, v[83:84], v[123:124] offset0:70 offset1:140
	ds_write2_b64 v147, v[125:126], v[127:128] offset0:82 offset1:152
	;; [unrolled: 1-line block ×5, first 2 shown]
	s_waitcnt vmcnt(1) lgkmcnt(5)
	v_mul_f32_e32 v64, v120, v142
	v_mul_f32_e32 v65, v119, v142
	s_waitcnt vmcnt(0)
	v_mul_f32_e32 v81, v122, v144
	v_mul_f32_e32 v82, v121, v144
	v_fma_f32 v64, v119, v141, -v64
	v_fmac_f32_e32 v65, v120, v141
	v_fma_f32 v81, v121, v143, -v81
	v_fmac_f32_e32 v82, v122, v143
	ds_write2_b64 v148, v[64:65], v[81:82] offset0:2 offset1:72
.LBB0_13:
	s_or_b64 exec, exec, s[12:13]
	s_waitcnt lgkmcnt(0)
	s_barrier
	s_and_saveexec_b64 s[12:13], s[0:1]
	s_cbranch_execz .LBB0_15
; %bb.14:
	v_add_u32_e32 v40, 0x400, v90
	ds_read_b64 v[79:80], v90
	ds_read2_b64 v[52:55], v90 offset0:70 offset1:140
	ds_read2_b64 v[56:59], v40 offset0:82 offset1:152
	v_add_u32_e32 v40, 0x800, v90
	ds_read2_b64 v[60:63], v40 offset0:94 offset1:164
	v_add_u32_e32 v40, 0xc00, v90
	;; [unrolled: 2-line block ×3, first 2 shown]
	v_add_u32_e32 v44, 0x1800, v90
	ds_read2_b64 v[40:43], v40 offset0:118 offset1:188
	ds_read2_b64 v[44:47], v44 offset0:2 offset1:72
.LBB0_15:
	s_or_b64 exec, exec, s[12:13]
	s_waitcnt lgkmcnt(0)
	v_sub_f32_e32 v140, v53, v47
	v_add_f32_e32 v110, v46, v52
	v_add_f32_e32 v114, v47, v53
	s_mov_b32 s14, 0x3f62ad3f
	v_mul_f32_e32 v99, 0xbeedf032, v140
	v_sub_f32_e32 v147, v55, v45
	v_mul_f32_e32 v100, 0x3f62ad3f, v114
	v_fma_f32 v64, v110, s14, -v99
	s_mov_b32 s15, 0x3f116cb1
	v_add_f32_e32 v118, v44, v54
	v_add_f32_e32 v123, v45, v55
	v_mul_f32_e32 v101, 0xbf52af12, v147
	v_sub_f32_e32 v146, v52, v46
	v_add_f32_e32 v64, v79, v64
	v_mov_b32_e32 v65, v100
	v_mul_f32_e32 v103, 0x3f116cb1, v123
	v_fma_f32 v105, v118, s15, -v101
	v_fmac_f32_e32 v65, 0xbeedf032, v146
	v_mul_f32_e32 v102, 0xbf52af12, v140
	v_sub_f32_e32 v150, v54, v44
	v_add_f32_e32 v64, v105, v64
	v_mov_b32_e32 v105, v103
	v_add_f32_e32 v65, v80, v65
	v_mul_f32_e32 v104, 0x3f116cb1, v114
	v_fma_f32 v81, v110, s15, -v102
	v_fmac_f32_e32 v105, 0xbf52af12, v150
	s_mov_b32 s17, 0xbeb58ec6
	v_mul_f32_e32 v106, 0xbf6f5d39, v147
	v_add_f32_e32 v81, v79, v81
	v_mov_b32_e32 v82, v104
	v_add_f32_e32 v65, v105, v65
	v_mul_f32_e32 v109, 0xbeb58ec6, v123
	v_fma_f32 v105, v118, s17, -v106
	v_fmac_f32_e32 v82, 0xbf52af12, v146
	s_mov_b32 s16, 0x3df6dbef
	v_mul_f32_e32 v108, 0xbf7e222b, v140
	;; [unrolled: 8-line block ×3, first 2 shown]
	v_add_f32_e32 v83, v79, v83
	v_mov_b32_e32 v84, v112
	v_add_f32_e32 v82, v105, v82
	v_mul_f32_e32 v120, 0xbf788fa5, v123
	v_fma_f32 v105, v118, s18, -v116
	v_fmac_f32_e32 v84, 0xbf7e222b, v146
	v_add_f32_e32 v83, v105, v83
	v_mov_b32_e32 v105, v120
	v_add_f32_e32 v84, v80, v84
	v_fmac_f32_e32 v105, 0xbe750f2a, v150
	v_sub_f32_e32 v151, v57, v43
	v_add_f32_e32 v84, v105, v84
	v_add_f32_e32 v127, v42, v56
	;; [unrolled: 1-line block ×3, first 2 shown]
	v_mul_f32_e32 v105, 0xbf7e222b, v151
	v_mul_f32_e32 v107, 0x3df6dbef, v132
	v_fma_f32 v111, v127, s16, -v105
	v_sub_f32_e32 v152, v56, v42
	v_add_f32_e32 v64, v111, v64
	v_mov_b32_e32 v111, v107
	v_fmac_f32_e32 v111, 0xbf7e222b, v152
	v_mul_f32_e32 v113, 0xbe750f2a, v151
	v_add_f32_e32 v65, v111, v65
	v_mul_f32_e32 v117, 0xbf788fa5, v132
	v_fma_f32 v111, v127, s18, -v113
	v_add_f32_e32 v81, v111, v81
	v_mov_b32_e32 v111, v117
	v_fmac_f32_e32 v111, 0xbe750f2a, v152
	v_mul_f32_e32 v124, 0x3f6f5d39, v151
	v_add_f32_e32 v82, v111, v82
	v_mul_f32_e32 v128, 0xbeb58ec6, v132
	v_fma_f32 v111, v127, s17, -v124
	v_add_f32_e32 v83, v111, v83
	v_mov_b32_e32 v111, v128
	v_fmac_f32_e32 v111, 0x3f6f5d39, v152
	v_sub_f32_e32 v153, v59, v41
	v_add_f32_e32 v84, v111, v84
	v_add_f32_e32 v134, v40, v58
	;; [unrolled: 1-line block ×3, first 2 shown]
	v_mul_f32_e32 v111, 0xbf6f5d39, v153
	v_mul_f32_e32 v115, 0xbeb58ec6, v138
	v_fma_f32 v119, v134, s17, -v111
	v_sub_f32_e32 v154, v58, v40
	v_add_f32_e32 v64, v119, v64
	v_mov_b32_e32 v119, v115
	v_fmac_f32_e32 v119, 0xbf6f5d39, v154
	s_mov_b32 s19, 0xbf3f9e67
	v_mul_f32_e32 v121, 0x3f29c268, v153
	v_add_f32_e32 v65, v119, v65
	v_mul_f32_e32 v125, 0xbf3f9e67, v138
	v_fma_f32 v119, v134, s19, -v121
	v_add_f32_e32 v81, v119, v81
	v_mov_b32_e32 v119, v125
	v_fmac_f32_e32 v119, 0x3f29c268, v154
	v_mul_f32_e32 v131, 0x3eedf032, v153
	v_add_f32_e32 v82, v119, v82
	v_mul_f32_e32 v135, 0x3f62ad3f, v138
	v_fma_f32 v119, v134, s14, -v131
	v_add_f32_e32 v83, v119, v83
	v_mov_b32_e32 v119, v135
	v_fmac_f32_e32 v119, 0x3eedf032, v154
	v_sub_f32_e32 v155, v61, v51
	v_add_f32_e32 v84, v119, v84
	v_add_f32_e32 v141, v50, v60
	;; [unrolled: 1-line block ×3, first 2 shown]
	v_mul_f32_e32 v119, 0xbf29c268, v155
	v_mul_f32_e32 v122, 0xbf3f9e67, v144
	v_fma_f32 v126, v141, s19, -v119
	v_sub_f32_e32 v156, v60, v50
	v_add_f32_e32 v64, v126, v64
	v_mov_b32_e32 v126, v122
	v_fmac_f32_e32 v126, 0xbf29c268, v156
	v_mul_f32_e32 v129, 0x3f7e222b, v155
	v_add_f32_e32 v65, v126, v65
	v_mul_f32_e32 v133, 0x3df6dbef, v144
	v_fma_f32 v126, v141, s16, -v129
	v_add_f32_e32 v81, v126, v81
	v_mov_b32_e32 v126, v133
	v_fmac_f32_e32 v126, 0x3f7e222b, v156
	v_mul_f32_e32 v137, 0xbf52af12, v155
	v_add_f32_e32 v82, v126, v82
	v_mul_f32_e32 v142, 0x3f116cb1, v144
	v_fma_f32 v126, v141, s15, -v137
	v_add_f32_e32 v83, v126, v83
	v_mov_b32_e32 v126, v142
	v_fmac_f32_e32 v126, 0xbf52af12, v156
	v_sub_f32_e32 v157, v63, v49
	v_add_f32_e32 v84, v126, v84
	v_add_f32_e32 v145, v48, v62
	;; [unrolled: 1-line block ×3, first 2 shown]
	v_mul_f32_e32 v126, 0xbe750f2a, v157
	v_mul_f32_e32 v130, 0xbf788fa5, v149
	v_fma_f32 v136, v145, s18, -v126
	v_sub_f32_e32 v158, v62, v48
	v_add_f32_e32 v64, v136, v64
	v_mov_b32_e32 v136, v130
	v_fmac_f32_e32 v136, 0xbe750f2a, v158
	v_add_f32_e32 v65, v136, v65
	v_mul_f32_e32 v136, 0x3eedf032, v157
	v_mul_f32_e32 v139, 0x3f62ad3f, v149
	v_fma_f32 v143, v145, s14, -v136
	v_add_f32_e32 v81, v143, v81
	v_mov_b32_e32 v143, v139
	v_fmac_f32_e32 v143, 0x3eedf032, v158
	v_add_f32_e32 v82, v143, v82
	v_mul_f32_e32 v143, 0xbf29c268, v157
	v_mul_f32_e32 v148, 0xbf3f9e67, v149
	v_fma_f32 v159, v145, s19, -v143
	v_add_f32_e32 v83, v159, v83
	v_mov_b32_e32 v159, v148
	v_fmac_f32_e32 v159, 0xbf29c268, v158
	v_add_f32_e32 v84, v159, v84
	s_barrier
	s_and_saveexec_b64 s[12:13], s[0:1]
	s_cbranch_execz .LBB0_17
; %bb.16:
	v_mul_f32_e32 v199, 0xbf6f5d39, v146
	v_mov_b32_e32 v159, v199
	v_mul_f32_e32 v200, 0x3f29c268, v150
	v_fmac_f32_e32 v159, 0xbeb58ec6, v114
	v_mov_b32_e32 v160, v200
	v_add_f32_e32 v159, v80, v159
	v_fmac_f32_e32 v160, 0xbf3f9e67, v123
	v_mul_f32_e32 v201, 0x3eedf032, v152
	v_add_f32_e32 v159, v160, v159
	v_mov_b32_e32 v160, v201
	v_fmac_f32_e32 v160, 0x3f62ad3f, v132
	v_mul_f32_e32 v202, 0xbf7e222b, v154
	v_add_f32_e32 v159, v160, v159
	v_mov_b32_e32 v160, v202
	;; [unrolled: 4-line block ×4, first 2 shown]
	v_fmac_f32_e32 v160, 0x3f116cb1, v149
	v_mul_f32_e32 v205, 0xbf6f5d39, v140
	v_add_f32_e32 v160, v160, v159
	v_fma_f32 v159, v110, s17, -v205
	v_mul_f32_e32 v206, 0x3f29c268, v147
	v_add_f32_e32 v159, v79, v159
	v_fma_f32 v161, v118, s19, -v206
	v_mul_f32_e32 v207, 0x3eedf032, v151
	v_add_f32_e32 v159, v161, v159
	v_fma_f32 v161, v127, s14, -v207
	v_mul_f32_e32 v208, 0xbf7e222b, v153
	v_add_f32_e32 v159, v161, v159
	v_fma_f32 v161, v134, s16, -v208
	v_mul_f32_e32 v209, 0x3e750f2a, v155
	v_add_f32_e32 v159, v161, v159
	v_fma_f32 v161, v141, s18, -v209
	v_mul_f32_e32 v210, 0x3f52af12, v157
	v_add_f32_e32 v159, v161, v159
	v_fma_f32 v161, v145, s15, -v210
	v_mul_f32_e32 v211, 0xbf29c268, v146
	v_add_f32_e32 v159, v161, v159
	v_mov_b32_e32 v161, v211
	v_mul_f32_e32 v212, 0x3f7e222b, v150
	v_fmac_f32_e32 v161, 0xbf3f9e67, v114
	v_mov_b32_e32 v162, v212
	v_add_f32_e32 v161, v80, v161
	v_fmac_f32_e32 v162, 0x3df6dbef, v123
	v_mul_f32_e32 v213, 0xbf52af12, v152
	v_add_f32_e32 v161, v162, v161
	v_mov_b32_e32 v162, v213
	v_fmac_f32_e32 v162, 0x3f116cb1, v132
	v_mul_f32_e32 v214, 0x3e750f2a, v154
	v_add_f32_e32 v161, v162, v161
	v_mov_b32_e32 v162, v214
	;; [unrolled: 4-line block ×4, first 2 shown]
	v_fmac_f32_e32 v162, 0xbeb58ec6, v149
	v_mul_f32_e32 v217, 0xbf29c268, v140
	v_add_f32_e32 v162, v162, v161
	v_fma_f32 v161, v110, s19, -v217
	v_mul_f32_e32 v218, 0x3f7e222b, v147
	v_add_f32_e32 v161, v79, v161
	v_fma_f32 v219, v118, s16, -v218
	v_add_f32_e32 v161, v219, v161
	v_mul_f32_e32 v219, 0xbf52af12, v151
	v_fma_f32 v220, v127, s15, -v219
	v_add_f32_e32 v161, v220, v161
	v_mul_f32_e32 v220, 0x3e750f2a, v153
	;; [unrolled: 3-line block ×4, first 2 shown]
	v_mul_f32_e32 v164, 0xbeedf032, v146
	v_mul_f32_e32 v166, 0xbf52af12, v146
	;; [unrolled: 1-line block ×3, first 2 shown]
	v_fma_f32 v223, v145, s17, -v222
	v_mul_f32_e32 v146, 0xbe750f2a, v146
	v_mul_f32_e32 v170, 0xbf52af12, v150
	;; [unrolled: 1-line block ×4, first 2 shown]
	v_add_f32_e32 v161, v223, v161
	v_mov_b32_e32 v223, v146
	v_mul_f32_e32 v150, 0x3eedf032, v150
	v_fmac_f32_e32 v223, 0xbf788fa5, v114
	v_mov_b32_e32 v224, v150
	v_add_f32_e32 v223, v80, v223
	v_fmac_f32_e32 v224, 0x3f62ad3f, v123
	v_add_f32_e32 v223, v224, v223
	v_mul_f32_e32 v224, 0xbf29c268, v152
	v_mul_f32_e32 v176, 0xbf7e222b, v152
	;; [unrolled: 1-line block ×4, first 2 shown]
	v_mov_b32_e32 v152, v224
	v_mul_f32_e32 v182, 0xbf6f5d39, v154
	v_mul_f32_e32 v184, 0x3f29c268, v154
	v_mul_f32_e32 v186, 0x3eedf032, v154
	v_fmac_f32_e32 v152, 0xbf3f9e67, v132
	v_mul_f32_e32 v154, 0x3f52af12, v154
	v_add_f32_e32 v152, v152, v223
	v_mov_b32_e32 v223, v154
	v_mul_f32_e32 v188, 0xbf29c268, v156
	v_mul_f32_e32 v190, 0x3f7e222b, v156
	v_mul_f32_e32 v192, 0xbf52af12, v156
	v_fmac_f32_e32 v223, 0x3f116cb1, v138
	v_mul_f32_e32 v156, 0xbf6f5d39, v156
	v_add_f32_e32 v152, v223, v152
	;; [unrolled: 7-line block ×3, first 2 shown]
	v_mov_b32_e32 v223, v158
	v_fmac_f32_e32 v223, 0x3df6dbef, v149
	v_mul_f32_e32 v140, 0xbe750f2a, v140
	v_add_f32_e32 v152, v223, v152
	v_fma_f32 v223, v110, s18, -v140
	v_mul_f32_e32 v225, 0x3eedf032, v147
	v_add_f32_e32 v223, v79, v223
	v_fma_f32 v147, v118, s14, -v225
	v_add_f32_e32 v147, v147, v223
	v_mul_f32_e32 v223, 0xbf29c268, v151
	v_fma_f32 v151, v127, s19, -v223
	v_mul_f32_e32 v153, 0x3f52af12, v153
	v_add_f32_e32 v147, v151, v147
	v_fma_f32 v151, v134, s15, -v153
	v_mul_f32_e32 v155, 0xbf6f5d39, v155
	v_add_f32_e32 v147, v151, v147
	;; [unrolled: 3-line block ×3, first 2 shown]
	v_fma_f32 v151, v145, s16, -v157
	v_fma_f32 v146, v114, s18, -v146
	v_fmac_f32_e32 v140, 0xbf788fa5, v110
	v_add_f32_e32 v151, v151, v147
	v_add_f32_e32 v146, v80, v146
	v_fma_f32 v147, v123, s14, -v150
	v_add_f32_e32 v140, v79, v140
	v_fmac_f32_e32 v225, 0x3f62ad3f, v118
	v_add_f32_e32 v146, v147, v146
	v_fma_f32 v147, v132, s19, -v224
	v_add_f32_e32 v140, v225, v140
	v_fmac_f32_e32 v223, 0xbf3f9e67, v127
	;; [unrolled: 4-line block ×5, first 2 shown]
	v_fmac_f32_e32 v205, 0xbeb58ec6, v110
	v_mul_f32_e32 v163, 0x3f62ad3f, v110
	v_mul_f32_e32 v165, 0x3f116cb1, v110
	v_mul_f32_e32 v167, 0x3df6dbef, v110
	v_add_f32_e32 v147, v147, v146
	v_add_f32_e32 v146, v157, v140
	v_fma_f32 v140, v114, s19, -v211
	v_fmac_f32_e32 v217, 0xbf3f9e67, v110
	v_fma_f32 v114, v114, s17, -v199
	v_add_f32_e32 v110, v79, v205
	v_fmac_f32_e32 v206, 0xbf3f9e67, v118
	v_add_f32_e32 v140, v80, v140
	v_fma_f32 v150, v123, s16, -v212
	v_add_f32_e32 v114, v80, v114
	v_fma_f32 v123, v123, s19, -v200
	v_add_f32_e32 v110, v206, v110
	v_fmac_f32_e32 v207, 0x3f62ad3f, v127
	v_add_f32_e32 v140, v150, v140
	v_fma_f32 v150, v132, s15, -v213
	v_add_f32_e32 v114, v123, v114
	;; [unrolled: 6-line block ×5, first 2 shown]
	v_fma_f32 v123, v149, s15, -v204
	v_add_f32_e32 v149, v210, v110
	v_sub_f32_e32 v110, v112, v168
	v_add_f32_e32 v110, v80, v110
	v_sub_f32_e32 v112, v120, v174
	;; [unrolled: 2-line block ×5, first 2 shown]
	v_mul_f32_e32 v173, 0xbf788fa5, v118
	v_add_f32_e32 v110, v112, v110
	v_sub_f32_e32 v112, v148, v198
	v_add_f32_e32 v108, v167, v108
	v_mul_f32_e32 v179, 0xbeb58ec6, v127
	v_add_f32_e32 v128, v112, v110
	v_add_f32_e32 v108, v79, v108
	v_add_f32_e32 v110, v173, v116
	v_add_f32_e32 v53, v53, v80
	v_mul_f32_e32 v185, 0x3f62ad3f, v134
	v_add_f32_e32 v108, v110, v108
	v_add_f32_e32 v110, v179, v124
	v_add_f32_e32 v53, v55, v53
	v_mul_f32_e32 v191, 0x3f116cb1, v141
	v_add_f32_e32 v108, v110, v108
	v_add_f32_e32 v110, v185, v131
	v_add_f32_e32 v53, v57, v53
	;; [unrolled: 4-line block ×3, first 2 shown]
	v_add_f32_e32 v108, v110, v108
	v_add_f32_e32 v110, v197, v143
	v_sub_f32_e32 v104, v104, v166
	v_add_f32_e32 v53, v61, v53
	v_mul_f32_e32 v175, 0x3df6dbef, v127
	v_mul_f32_e32 v177, 0xbf788fa5, v127
	v_fmac_f32_e32 v219, 0x3f116cb1, v127
	v_add_f32_e32 v127, v110, v108
	v_add_f32_e32 v104, v80, v104
	v_sub_f32_e32 v108, v109, v172
	v_add_f32_e32 v53, v63, v53
	v_add_f32_e32 v104, v108, v104
	v_sub_f32_e32 v108, v117, v178
	;; [unrolled: 3-line block ×4, first 2 shown]
	v_add_f32_e32 v41, v41, v49
	v_mul_f32_e32 v171, 0xbeb58ec6, v118
	v_add_f32_e32 v104, v108, v104
	v_sub_f32_e32 v108, v139, v196
	v_add_f32_e32 v102, v165, v102
	v_add_f32_e32 v41, v43, v41
	v_add_f32_e32 v43, v52, v79
	v_add_f32_e32 v109, v108, v104
	v_add_f32_e32 v102, v79, v102
	v_add_f32_e32 v104, v171, v106
	v_add_f32_e32 v43, v54, v43
	v_mul_f32_e32 v183, 0xbf3f9e67, v134
	v_add_f32_e32 v102, v104, v102
	v_add_f32_e32 v104, v177, v113
	v_add_f32_e32 v43, v56, v43
	v_mul_f32_e32 v189, 0x3df6dbef, v141
	v_add_f32_e32 v102, v104, v102
	v_add_f32_e32 v104, v183, v121
	v_add_f32_e32 v43, v58, v43
	;; [unrolled: 4-line block ×3, first 2 shown]
	v_mul_f32_e32 v169, 0x3f116cb1, v118
	v_add_f32_e32 v102, v104, v102
	v_add_f32_e32 v104, v195, v136
	v_sub_f32_e32 v100, v100, v164
	v_add_f32_e32 v99, v163, v99
	v_add_f32_e32 v43, v62, v43
	;; [unrolled: 1-line block ×4, first 2 shown]
	v_sub_f32_e32 v102, v103, v170
	v_add_f32_e32 v99, v79, v99
	v_add_f32_e32 v101, v169, v101
	;; [unrolled: 1-line block ×3, first 2 shown]
	v_mul_f32_e32 v181, 0xbeb58ec6, v134
	v_add_f32_e32 v154, v150, v140
	v_add_f32_e32 v140, v79, v217
	v_fmac_f32_e32 v218, 0x3df6dbef, v118
	v_add_f32_e32 v100, v102, v100
	v_sub_f32_e32 v102, v107, v176
	v_add_f32_e32 v99, v101, v99
	v_add_f32_e32 v101, v175, v105
	v_add_f32_e32 v43, v50, v43
	v_mul_f32_e32 v187, 0xbf3f9e67, v141
	v_add_f32_e32 v140, v218, v140
	v_add_f32_e32 v100, v102, v100
	v_sub_f32_e32 v102, v115, v182
	v_add_f32_e32 v99, v101, v99
	v_add_f32_e32 v101, v181, v111
	v_add_f32_e32 v40, v40, v43
	v_mul_f32_e32 v193, 0xbf788fa5, v145
	v_add_f32_e32 v140, v219, v140
	v_fmac_f32_e32 v220, 0xbf788fa5, v134
	v_add_f32_e32 v100, v102, v100
	v_sub_f32_e32 v102, v122, v188
	v_add_f32_e32 v99, v101, v99
	v_add_f32_e32 v101, v187, v119
	;; [unrolled: 1-line block ×4, first 2 shown]
	v_fmac_f32_e32 v221, 0x3f62ad3f, v141
	v_add_f32_e32 v100, v102, v100
	v_sub_f32_e32 v102, v130, v194
	v_add_f32_e32 v99, v101, v99
	v_add_f32_e32 v101, v193, v126
	;; [unrolled: 1-line block ×5, first 2 shown]
	v_fmac_f32_e32 v222, 0xbeb58ec6, v145
	v_add_f32_e32 v100, v102, v100
	v_add_f32_e32 v99, v101, v99
	;; [unrolled: 1-line block ×4, first 2 shown]
	v_lshl_add_u32 v42, v88, 3, v87
	v_add_f32_e32 v153, v222, v140
	v_add_f32_e32 v150, v123, v114
	ds_write2_b64 v42, v[40:41], v[99:100] offset1:1
	ds_write2_b64 v42, v[108:109], v[127:128] offset0:2 offset1:3
	ds_write2_b64 v42, v[149:150], v[153:154] offset0:4 offset1:5
	;; [unrolled: 1-line block ×5, first 2 shown]
	ds_write_b64 v42, v[64:65] offset:96
.LBB0_17:
	s_or_b64 exec, exec, s[12:13]
	v_add_u32_e32 v46, 0x800, v89
	s_waitcnt lgkmcnt(0)
	s_barrier
	ds_read2_b64 v[47:50], v46 offset0:108 offset1:199
	v_add_u32_e32 v62, 0x1000, v89
	ds_read2_b64 v[51:54], v62 offset0:34 offset1:125
	v_add_u32_e32 v44, 0x400, v89
	;; [unrolled: 2-line block ×3, first 2 shown]
	ds_read2_b64 v[99:102], v44 offset0:88 offset1:179
	ds_read2_b64 v[40:43], v89 offset1:91
	s_waitcnt lgkmcnt(4)
	v_mul_f32_e32 v44, v76, v50
	v_fmac_f32_e32 v44, v75, v49
	v_mul_f32_e32 v45, v76, v49
	s_waitcnt lgkmcnt(3)
	v_mul_f32_e32 v49, v72, v51
	v_fma_f32 v60, v71, v52, -v49
	v_mul_f32_e32 v49, v70, v53
	v_mul_f32_e32 v61, v70, v54
	v_fma_f32 v63, v69, v54, -v49
	s_waitcnt lgkmcnt(1)
	v_mul_f32_e32 v49, v68, v99
	v_fma_f32 v45, v75, v50, -v45
	v_mul_f32_e32 v59, v72, v52
	v_fmac_f32_e32 v61, v69, v53
	v_mul_f32_e32 v69, v68, v100
	v_fma_f32 v70, v67, v100, -v49
	v_mul_f32_e32 v49, v74, v101
	v_fmac_f32_e32 v59, v71, v51
	v_fmac_f32_e32 v69, v67, v99
	v_mul_f32_e32 v71, v74, v102
	v_fma_f32 v72, v73, v102, -v49
	s_waitcnt lgkmcnt(0)
	v_sub_f32_e32 v49, v40, v44
	v_sub_f32_e32 v50, v41, v45
	v_fmac_f32_e32 v71, v73, v101
	v_fma_f32 v51, v40, 2.0, -v49
	v_fma_f32 v52, v41, 2.0, -v50
	v_sub_f32_e32 v53, v42, v59
	v_sub_f32_e32 v54, v43, v60
	;; [unrolled: 1-line block ×6, first 2 shown]
	v_fma_f32 v59, v42, 2.0, -v53
	v_fma_f32 v60, v43, 2.0, -v54
	;; [unrolled: 1-line block ×6, first 2 shown]
	v_sub_f32_e32 v44, v47, v71
	v_sub_f32_e32 v45, v48, v72
	v_fma_f32 v42, v47, 2.0, -v44
	v_fma_f32 v43, v48, 2.0, -v45
	s_barrier
	ds_write2_b64 v93, v[51:52], v[49:50] offset1:13
	ds_write2_b64 v94, v[59:60], v[53:54] offset1:13
	;; [unrolled: 1-line block ×5, first 2 shown]
	s_waitcnt lgkmcnt(0)
	s_barrier
	ds_read2_b64 v[48:51], v89 offset1:130
	ds_read2_b64 v[56:59], v46 offset0:4 offset1:134
	ds_read2_b64 v[52:55], v62 offset0:8 offset1:138
	ds_read_b64 v[60:61], v89 offset:6240
	s_and_saveexec_b64 s[12:13], s[2:3]
	s_cbranch_execz .LBB0_19
; %bb.18:
	ds_read2_b64 v[44:47], v46 offset0:95 offset1:225
	ds_read2_b64 v[62:65], v62 offset0:99 offset1:229
	ds_read2_b64 v[40:43], v89 offset0:91 offset1:221
	ds_read_b64 v[77:78], v89 offset:6968
	s_waitcnt lgkmcnt(3)
	v_mov_b32_e32 v83, v46
	v_mov_b32_e32 v84, v47
	s_waitcnt lgkmcnt(2)
	v_mov_b32_e32 v81, v62
	v_mov_b32_e32 v82, v63
.LBB0_19:
	s_or_b64 exec, exec, s[12:13]
	s_waitcnt lgkmcnt(3)
	v_mul_f32_e32 v47, v17, v51
	v_mul_f32_e32 v17, v17, v50
	v_fmac_f32_e32 v47, v16, v50
	v_fma_f32 v16, v16, v51, -v17
	s_waitcnt lgkmcnt(2)
	v_mul_f32_e32 v17, v19, v57
	v_mul_f32_e32 v19, v19, v56
	v_fmac_f32_e32 v17, v18, v56
	v_fma_f32 v18, v18, v57, -v19
	v_mul_f32_e32 v19, v13, v59
	v_mul_f32_e32 v13, v13, v58
	v_fmac_f32_e32 v19, v12, v58
	v_fma_f32 v12, v12, v59, -v13
	s_waitcnt lgkmcnt(1)
	v_mul_f32_e32 v13, v15, v53
	v_mul_f32_e32 v15, v15, v52
	v_fmac_f32_e32 v13, v14, v52
	v_fma_f32 v14, v14, v53, -v15
	;; [unrolled: 9-line block ×3, first 2 shown]
	v_add_f32_e32 v23, v47, v21
	v_add_f32_e32 v50, v16, v22
	v_sub_f32_e32 v16, v16, v22
	v_add_f32_e32 v22, v17, v15
	v_sub_f32_e32 v21, v47, v21
	;; [unrolled: 2-line block ×3, first 2 shown]
	v_sub_f32_e32 v17, v18, v20
	v_add_f32_e32 v18, v19, v13
	v_add_f32_e32 v20, v12, v14
	v_sub_f32_e32 v12, v14, v12
	v_add_f32_e32 v14, v22, v23
	v_sub_f32_e32 v13, v13, v19
	v_add_f32_e32 v19, v47, v50
	v_add_f32_e32 v14, v18, v14
	v_sub_f32_e32 v51, v22, v23
	v_sub_f32_e32 v23, v23, v18
	;; [unrolled: 1-line block ×3, first 2 shown]
	v_add_f32_e32 v54, v12, v17
	v_sub_f32_e32 v55, v13, v15
	v_sub_f32_e32 v56, v12, v17
	;; [unrolled: 1-line block ×3, first 2 shown]
	v_add_f32_e32 v18, v20, v19
	v_add_f32_e32 v12, v48, v14
	v_sub_f32_e32 v52, v47, v50
	v_sub_f32_e32 v50, v50, v20
	;; [unrolled: 1-line block ×3, first 2 shown]
	v_add_f32_e32 v53, v13, v15
	v_sub_f32_e32 v57, v21, v13
	v_add_f32_e32 v13, v49, v18
	v_mul_f32_e32 v49, 0x3f08b237, v55
	v_mov_b32_e32 v55, v12
	v_sub_f32_e32 v15, v15, v21
	v_sub_f32_e32 v17, v17, v16
	v_add_f32_e32 v19, v53, v21
	v_mul_f32_e32 v20, 0x3f4a47b2, v23
	v_mul_f32_e32 v21, 0x3f4a47b2, v50
	;; [unrolled: 1-line block ×5, first 2 shown]
	s_mov_b32 s14, 0xbf5ff5aa
	v_fmac_f32_e32 v55, 0xbf955555, v14
	v_mov_b32_e32 v14, v13
	s_mov_b32 s15, 0x3f3bfb3b
	s_mov_b32 s16, 0xbf3bfb3b
	v_add_f32_e32 v16, v54, v16
	v_mul_f32_e32 v53, 0xbf5ff5aa, v15
	v_mul_f32_e32 v54, 0xbf5ff5aa, v17
	v_fmac_f32_e32 v14, 0xbf955555, v18
	v_fma_f32 v18, v51, s15, -v23
	v_fma_f32 v23, v52, s15, -v48
	;; [unrolled: 1-line block ×3, first 2 shown]
	v_fmac_f32_e32 v20, 0x3d64c772, v22
	v_fma_f32 v22, v52, s16, -v21
	v_fmac_f32_e32 v21, 0x3d64c772, v47
	v_fma_f32 v47, v15, s14, -v49
	;; [unrolled: 2-line block ×3, first 2 shown]
	v_fmac_f32_e32 v50, 0xbeae86e6, v58
	s_mov_b32 s17, 0x3eae86e6
	v_fma_f32 v52, v57, s17, -v53
	v_fma_f32 v53, v58, s17, -v54
	v_add_f32_e32 v54, v20, v55
	v_add_f32_e32 v56, v21, v14
	v_fmac_f32_e32 v49, 0xbee1c552, v19
	v_fmac_f32_e32 v50, 0xbee1c552, v16
	v_add_u32_e32 v46, 0x2d8, v90
	v_add_f32_e32 v20, v18, v55
	v_add_f32_e32 v21, v23, v14
	;; [unrolled: 1-line block ×4, first 2 shown]
	v_fmac_f32_e32 v47, 0xbee1c552, v19
	v_fmac_f32_e32 v51, 0xbee1c552, v16
	;; [unrolled: 1-line block ×4, first 2 shown]
	v_add_f32_e32 v14, v50, v54
	v_sub_f32_e32 v15, v56, v49
	v_add_f32_e32 v16, v53, v23
	v_sub_f32_e32 v17, v48, v52
	v_sub_f32_e32 v18, v20, v51
	v_add_f32_e32 v19, v47, v21
	v_add_f32_e32 v20, v51, v20
	v_sub_f32_e32 v21, v21, v47
	v_sub_f32_e32 v22, v23, v53
	v_add_f32_e32 v23, v52, v48
	v_sub_f32_e32 v47, v54, v50
	v_add_f32_e32 v48, v49, v56
	s_barrier
	ds_write2_b64 v98, v[12:13], v[14:15] offset1:26
	ds_write2_b64 v98, v[16:17], v[18:19] offset0:52 offset1:78
	ds_write2_b64 v98, v[20:21], v[22:23] offset0:104 offset1:130
	ds_write_b64 v98, v[47:48] offset:1248
	s_and_saveexec_b64 s[12:13], s[2:3]
	s_cbranch_execz .LBB0_21
; %bb.20:
	v_mul_f32_e32 v12, v1, v43
	v_mul_f32_e32 v13, v7, v78
	;; [unrolled: 1-line block ×4, first 2 shown]
	v_fmac_f32_e32 v12, v0, v42
	v_fmac_f32_e32 v13, v6, v77
	v_mul_f32_e32 v16, v9, v84
	v_fma_f32 v6, v6, v78, -v7
	v_fma_f32 v7, v0, v43, -v1
	v_mul_f32_e32 v0, v9, v83
	v_fmac_f32_e32 v16, v8, v83
	v_fma_f32 v8, v8, v84, -v0
	v_mul_f32_e32 v0, v11, v81
	v_fma_f32 v9, v10, v82, -v0
	v_add_f32_e32 v42, v6, v7
	v_add_f32_e32 v0, v8, v9
	v_mul_f32_e32 v15, v11, v82
	v_sub_f32_e32 v1, v42, v0
	v_fmac_f32_e32 v15, v10, v81
	v_mul_f32_e32 v20, v5, v65
	v_mul_f32_e32 v10, 0x3f4a47b2, v1
	;; [unrolled: 1-line block ×4, first 2 shown]
	v_fmac_f32_e32 v20, v4, v64
	v_fma_f32 v4, v4, v65, -v1
	v_mul_f32_e32 v1, v3, v44
	v_fmac_f32_e32 v19, v2, v44
	v_fma_f32 v2, v2, v45, -v1
	v_add_f32_e32 v5, v4, v2
	v_sub_f32_e32 v1, v0, v5
	v_mov_b32_e32 v3, v10
	v_mul_f32_e32 v11, 0x3d64c772, v1
	v_fmac_f32_e32 v3, 0x3d64c772, v1
	v_add_f32_e32 v1, v5, v42
	v_add_f32_e32 v0, v0, v1
	;; [unrolled: 1-line block ×3, first 2 shown]
	v_mov_b32_e32 v41, v1
	v_sub_f32_e32 v14, v12, v13
	v_fmac_f32_e32 v41, 0xbf955555, v0
	v_add_f32_e32 v12, v13, v12
	v_add_f32_e32 v0, v16, v15
	v_sub_f32_e32 v13, v12, v0
	v_sub_f32_e32 v17, v15, v16
	v_mul_f32_e32 v13, 0x3f4a47b2, v13
	v_add_f32_e32 v15, v20, v19
	v_sub_f32_e32 v21, v19, v20
	v_sub_f32_e32 v16, v0, v15
	v_mov_b32_e32 v20, v13
	v_mul_f32_e32 v19, 0x3d64c772, v16
	v_fmac_f32_e32 v20, 0x3d64c772, v16
	v_add_f32_e32 v16, v15, v12
	v_add_f32_e32 v16, v0, v16
	v_sub_f32_e32 v6, v7, v6
	v_sub_f32_e32 v7, v9, v8
	v_sub_f32_e32 v4, v2, v4
	v_sub_f32_e32 v22, v17, v21
	v_add_f32_e32 v0, v40, v16
	v_sub_f32_e32 v2, v7, v4
	v_sub_f32_e32 v18, v14, v17
	v_mul_f32_e32 v22, 0x3f08b237, v22
	v_add_f32_e32 v17, v17, v21
	v_mov_b32_e32 v40, v0
	v_sub_f32_e32 v8, v6, v7
	v_mul_f32_e32 v9, 0x3f08b237, v2
	v_add_f32_e32 v2, v7, v4
	v_sub_f32_e32 v7, v21, v14
	v_mov_b32_e32 v23, v22
	v_add_f32_e32 v17, v17, v14
	v_fmac_f32_e32 v40, 0xbf955555, v16
	v_add_f32_e32 v44, v2, v6
	v_mul_f32_e32 v14, 0xbf5ff5aa, v7
	v_sub_f32_e32 v6, v4, v6
	v_fmac_f32_e32 v23, 0xbeae86e6, v18
	v_add_f32_e32 v16, v20, v40
	v_mov_b32_e32 v20, v9
	v_fma_f32 v14, v18, s17, -v14
	v_sub_f32_e32 v18, v5, v42
	v_mul_f32_e32 v4, 0xbf5ff5aa, v6
	v_fmac_f32_e32 v20, 0xbeae86e6, v8
	v_fma_f32 v5, v18, s16, -v10
	v_sub_f32_e32 v12, v15, v12
	v_fma_f32 v15, v8, s17, -v4
	v_fma_f32 v8, v18, s15, -v11
	v_fma_f32 v11, v7, s14, -v22
	v_fmac_f32_e32 v14, 0xbee1c552, v17
	v_add_f32_e32 v10, v5, v41
	v_add_f32_e32 v8, v8, v41
	v_fmac_f32_e32 v11, 0xbee1c552, v17
	v_fmac_f32_e32 v23, 0xbee1c552, v17
	v_add_f32_e32 v5, v14, v10
	v_fma_f32 v13, v12, s16, -v13
	v_sub_f32_e32 v7, v8, v11
	v_fma_f32 v17, v6, s14, -v9
	v_fma_f32 v6, v12, s15, -v19
	v_add_f32_e32 v9, v11, v8
	v_sub_f32_e32 v11, v10, v14
	v_mul_u32_u24_e32 v14, 0xb6, v91
	v_add_f32_e32 v43, v3, v41
	v_fmac_f32_e32 v20, 0xbee1c552, v44
	v_add_f32_e32 v13, v13, v40
	v_fmac_f32_e32 v15, 0xbee1c552, v44
	v_fmac_f32_e32 v17, 0xbee1c552, v44
	v_add_f32_e32 v12, v6, v40
	v_add_u32_e32 v14, v14, v92
	v_sub_f32_e32 v4, v13, v15
	v_add_f32_e32 v6, v17, v12
	v_sub_f32_e32 v8, v12, v17
	v_add_f32_e32 v10, v15, v13
	;; [unrolled: 2-line block ×3, first 2 shown]
	v_lshl_add_u32 v14, v14, 3, v87
	v_add_f32_e32 v3, v23, v43
	v_sub_f32_e32 v2, v16, v20
	ds_write2_b64 v14, v[0:1], v[12:13] offset1:26
	ds_write2_b64 v14, v[10:11], v[8:9] offset0:52 offset1:78
	ds_write2_b64 v14, v[6:7], v[4:5] offset0:104 offset1:130
	ds_write_b64 v14, v[2:3] offset:1248
.LBB0_21:
	s_or_b64 exec, exec, s[12:13]
	v_add_u32_e32 v4, 0x400, v89
	s_waitcnt lgkmcnt(0)
	s_barrier
	ds_read2_b64 v[4:7], v4 offset0:54 offset1:145
	v_add_u32_e32 v8, 0x800, v89
	ds_read2_b64 v[8:11], v8 offset0:108 offset1:199
	v_add_u32_e32 v12, 0x1000, v89
	;; [unrolled: 2-line block ×3, first 2 shown]
	ds_read2_b64 v[16:19], v16 offset0:88 offset1:179
	s_waitcnt lgkmcnt(3)
	v_mul_f32_e32 v20, v29, v5
	ds_read2_b64 v[0:3], v89 offset1:91
	v_fmac_f32_e32 v20, v28, v4
	v_mul_f32_e32 v4, v29, v4
	v_fma_f32 v21, v28, v5, -v4
	s_waitcnt lgkmcnt(3)
	v_mul_f32_e32 v4, v31, v8
	v_mul_f32_e32 v22, v31, v9
	v_fma_f32 v23, v30, v9, -v4
	s_waitcnt lgkmcnt(2)
	v_mul_f32_e32 v28, v25, v13
	v_mul_f32_e32 v4, v25, v12
	v_fmac_f32_e32 v22, v30, v8
	v_fmac_f32_e32 v28, v24, v12
	v_fma_f32 v12, v24, v13, -v4
	s_waitcnt lgkmcnt(1)
	v_mul_f32_e32 v4, v27, v16
	v_mul_f32_e32 v9, v27, v17
	v_fma_f32 v13, v26, v17, -v4
	v_mul_f32_e32 v17, v37, v7
	v_add_f32_e32 v5, v22, v28
	v_fmac_f32_e32 v17, v36, v6
	v_mul_f32_e32 v4, v37, v6
	s_waitcnt lgkmcnt(0)
	v_fma_f32 v6, -0.5, v5, v0
	v_fmac_f32_e32 v9, v26, v16
	v_fma_f32 v24, v36, v7, -v4
	v_mul_f32_e32 v25, v39, v11
	v_mul_f32_e32 v4, v39, v10
	v_sub_f32_e32 v5, v21, v13
	v_mov_b32_e32 v8, v6
	v_fmac_f32_e32 v25, v38, v10
	v_fma_f32 v26, v38, v11, -v4
	v_fmac_f32_e32 v8, 0xbf737871, v5
	v_sub_f32_e32 v7, v23, v12
	v_sub_f32_e32 v10, v20, v22
	;; [unrolled: 1-line block ×3, first 2 shown]
	v_fmac_f32_e32 v6, 0x3f737871, v5
	v_mul_f32_e32 v4, v33, v14
	v_fmac_f32_e32 v8, 0xbf167918, v7
	v_add_f32_e32 v10, v10, v11
	v_fmac_f32_e32 v6, 0x3f167918, v7
	v_fma_f32 v29, v32, v15, -v4
	v_mul_f32_e32 v4, v35, v18
	v_fmac_f32_e32 v8, 0x3e9e377a, v10
	v_fmac_f32_e32 v6, 0x3e9e377a, v10
	v_add_f32_e32 v10, v20, v9
	v_fma_f32 v31, v34, v19, -v4
	v_add_f32_e32 v4, v0, v20
	v_fma_f32 v0, -0.5, v10, v0
	v_mov_b32_e32 v10, v0
	v_mul_f32_e32 v27, v33, v15
	v_add_f32_e32 v4, v4, v22
	v_fmac_f32_e32 v10, 0x3f737871, v7
	v_fmac_f32_e32 v0, 0xbf737871, v7
	v_add_f32_e32 v7, v23, v12
	v_fmac_f32_e32 v27, v32, v14
	v_add_f32_e32 v4, v4, v28
	v_sub_f32_e32 v11, v22, v20
	v_sub_f32_e32 v14, v28, v9
	v_fma_f32 v7, -0.5, v7, v1
	v_add_f32_e32 v4, v4, v9
	v_fmac_f32_e32 v10, 0xbf167918, v5
	v_add_f32_e32 v11, v11, v14
	v_fmac_f32_e32 v0, 0x3f167918, v5
	v_sub_f32_e32 v14, v20, v9
	v_mov_b32_e32 v9, v7
	v_fmac_f32_e32 v10, 0x3e9e377a, v11
	v_fmac_f32_e32 v0, 0x3e9e377a, v11
	;; [unrolled: 1-line block ×3, first 2 shown]
	v_sub_f32_e32 v15, v22, v28
	v_sub_f32_e32 v11, v21, v23
	;; [unrolled: 1-line block ×3, first 2 shown]
	v_fmac_f32_e32 v7, 0xbf737871, v14
	v_fmac_f32_e32 v9, 0x3f167918, v15
	v_add_f32_e32 v11, v11, v16
	v_fmac_f32_e32 v7, 0xbf167918, v15
	v_add_f32_e32 v5, v1, v21
	v_fmac_f32_e32 v9, 0x3e9e377a, v11
	v_fmac_f32_e32 v7, 0x3e9e377a, v11
	v_add_f32_e32 v11, v21, v13
	v_add_f32_e32 v5, v5, v23
	v_fma_f32 v1, -0.5, v11, v1
	v_add_f32_e32 v5, v5, v12
	v_mov_b32_e32 v11, v1
	v_add_f32_e32 v5, v5, v13
	v_fmac_f32_e32 v11, 0xbf737871, v15
	v_sub_f32_e32 v12, v12, v13
	v_fmac_f32_e32 v1, 0x3f737871, v15
	v_add_f32_e32 v13, v25, v27
	v_mul_f32_e32 v30, v35, v19
	v_fmac_f32_e32 v11, 0x3f167918, v14
	v_sub_f32_e32 v16, v23, v21
	v_fmac_f32_e32 v1, 0xbf167918, v14
	v_fma_f32 v14, -0.5, v13, v2
	v_fmac_f32_e32 v30, v34, v18
	v_add_f32_e32 v12, v16, v12
	v_sub_f32_e32 v13, v24, v31
	v_mov_b32_e32 v16, v14
	v_fmac_f32_e32 v16, 0xbf737871, v13
	v_sub_f32_e32 v15, v26, v29
	v_sub_f32_e32 v18, v17, v25
	;; [unrolled: 1-line block ×3, first 2 shown]
	v_fmac_f32_e32 v14, 0x3f737871, v13
	v_fmac_f32_e32 v16, 0xbf167918, v15
	v_add_f32_e32 v18, v18, v19
	v_fmac_f32_e32 v14, 0x3f167918, v15
	v_fmac_f32_e32 v16, 0x3e9e377a, v18
	;; [unrolled: 1-line block ×3, first 2 shown]
	v_add_f32_e32 v18, v17, v30
	v_fmac_f32_e32 v11, 0x3e9e377a, v12
	v_fmac_f32_e32 v1, 0x3e9e377a, v12
	v_add_f32_e32 v12, v2, v17
	v_fma_f32 v2, -0.5, v18, v2
	v_mov_b32_e32 v18, v2
	v_fmac_f32_e32 v18, 0x3f737871, v15
	v_fmac_f32_e32 v2, 0xbf737871, v15
	v_add_f32_e32 v15, v26, v29
	v_sub_f32_e32 v19, v25, v17
	v_sub_f32_e32 v20, v27, v30
	v_fma_f32 v15, -0.5, v15, v3
	v_fmac_f32_e32 v18, 0xbf167918, v13
	v_add_f32_e32 v19, v19, v20
	v_fmac_f32_e32 v2, 0x3f167918, v13
	v_sub_f32_e32 v20, v17, v30
	v_mov_b32_e32 v17, v15
	v_fmac_f32_e32 v18, 0x3e9e377a, v19
	v_fmac_f32_e32 v2, 0x3e9e377a, v19
	v_fmac_f32_e32 v17, 0x3f737871, v20
	v_sub_f32_e32 v21, v25, v27
	v_sub_f32_e32 v19, v24, v26
	;; [unrolled: 1-line block ×3, first 2 shown]
	v_fmac_f32_e32 v15, 0xbf737871, v20
	v_fmac_f32_e32 v17, 0x3f167918, v21
	v_add_f32_e32 v19, v19, v22
	v_fmac_f32_e32 v15, 0xbf167918, v21
	v_fmac_f32_e32 v17, 0x3e9e377a, v19
	;; [unrolled: 1-line block ×3, first 2 shown]
	v_add_f32_e32 v19, v24, v31
	v_add_f32_e32 v13, v3, v24
	v_fmac_f32_e32 v3, -0.5, v19
	v_mov_b32_e32 v19, v3
	v_add_f32_e32 v12, v12, v25
	v_add_f32_e32 v13, v13, v26
	v_fmac_f32_e32 v19, 0xbf737871, v21
	v_sub_f32_e32 v22, v26, v24
	v_sub_f32_e32 v23, v29, v31
	v_add_f32_e32 v12, v12, v27
	v_add_f32_e32 v13, v13, v29
	v_fmac_f32_e32 v19, 0x3f167918, v20
	v_add_f32_e32 v22, v22, v23
	v_fmac_f32_e32 v3, 0x3f737871, v21
	ds_write_b64 v90, v[4:5]
	v_add_u32_e32 v4, 0xa00, v90
	v_add_f32_e32 v12, v12, v30
	v_add_f32_e32 v13, v13, v31
	v_fmac_f32_e32 v19, 0x3e9e377a, v22
	v_fmac_f32_e32 v3, 0xbf167918, v20
	ds_write2_b64 v4, v[10:11], v[0:1] offset0:44 offset1:226
	ds_write_b64 v90, v[6:7] offset:5824
	ds_write2_b64 v90, v[12:13], v[8:9] offset0:91 offset1:182
	v_add_u32_e32 v0, 0x400, v46
	s_movk_i32 s2, 0x1000
	v_fmac_f32_e32 v3, 0x3e9e377a, v22
	ds_write2_b64 v0, v[16:17], v[18:19] offset0:54 offset1:236
	v_add_u32_e32 v0, 0x1000, v46
	ds_write2_b64 v0, v[2:3], v[14:15] offset0:34 offset1:216
	s_waitcnt lgkmcnt(0)
	s_barrier
	s_and_b64 exec, exec, s[0:1]
	s_cbranch_execz .LBB0_23
; %bb.22:
	global_load_dwordx2 v[8:9], v86, s[10:11]
	global_load_dwordx2 v[10:11], v86, s[10:11] offset:560
	global_load_dwordx2 v[12:13], v86, s[10:11] offset:1120
	;; [unrolled: 1-line block ×3, first 2 shown]
	ds_read_b64 v[18:19], v90
	ds_read2_b64 v[0:3], v90 offset0:70 offset1:140
	global_load_dwordx2 v[22:23], v86, s[10:11] offset:2240
	global_load_dwordx2 v[24:25], v86, s[10:11] offset:2800
	;; [unrolled: 1-line block ×4, first 2 shown]
	v_mad_u64_u32 v[16:17], s[0:1], s6, v66, 0
	v_mad_u64_u32 v[20:21], s[12:13], s4, v85, 0
	v_mov_b32_e32 v36, s9
	s_mul_i32 s6, s5, 0x230
	s_mul_hi_u32 s9, s4, 0x230
	s_mul_i32 s3, s4, 0x230
	s_add_i32 s4, s9, s6
	s_waitcnt lgkmcnt(1)
	v_mad_u64_u32 v[30:31], s[6:7], s7, v66, v[17:18]
	v_mov_b32_e32 v4, s11
	v_add_co_u32_e32 v33, vcc, s10, v86
	v_addc_co_u32_e32 v34, vcc, 0, v4, vcc
	v_mov_b32_e32 v17, v30
	v_lshlrev_b64 v[16:17], 3, v[16:17]
	v_add_u32_e32 v5, 0x400, v90
	ds_read2_b64 v[4:7], v5 offset0:82 offset1:152
	v_mov_b32_e32 v37, s4
	s_mov_b32 s0, 0x12012012
	s_mov_b32 s1, 0x3f520120
	v_mov_b32_e32 v38, s4
	s_waitcnt vmcnt(7)
	v_mul_f32_e32 v30, v19, v9
	v_mul_f32_e32 v9, v18, v9
	v_fmac_f32_e32 v30, v18, v8
	s_waitcnt vmcnt(3)
	v_mad_u64_u32 v[31:32], s[6:7], s5, v85, v[21:22]
	v_add_co_u32_e32 v32, vcc, s2, v33
	v_addc_co_u32_e32 v33, vcc, 0, v34, vcc
	v_mov_b32_e32 v21, v31
	v_lshlrev_b64 v[20:21], 3, v[20:21]
	v_add_co_u32_e32 v16, vcc, s8, v16
	v_addc_co_u32_e32 v17, vcc, v36, v17, vcc
	v_add_co_u32_e32 v16, vcc, v16, v20
	v_addc_co_u32_e32 v17, vcc, v17, v21, vcc
	v_add_co_u32_e32 v20, vcc, s3, v16
	s_waitcnt lgkmcnt(1)
	v_mul_f32_e32 v31, v1, v11
	v_mul_f32_e32 v11, v0, v11
	;; [unrolled: 1-line block ×4, first 2 shown]
	v_fma_f32 v8, v8, v19, -v9
	v_addc_co_u32_e32 v21, vcc, v17, v37, vcc
	s_waitcnt lgkmcnt(0)
	v_mul_f32_e32 v37, v5, v15
	v_mul_f32_e32 v15, v4, v15
	v_fmac_f32_e32 v31, v0, v10
	v_fma_f32 v9, v10, v1, -v11
	v_fmac_f32_e32 v36, v2, v12
	v_fma_f32 v12, v12, v3, -v13
	v_cvt_f64_f32_e32 v[0:1], v30
	v_cvt_f64_f32_e32 v[2:3], v8
	v_fmac_f32_e32 v37, v4, v14
	v_fma_f32 v18, v14, v5, -v15
	v_cvt_f64_f32_e32 v[4:5], v31
	v_cvt_f64_f32_e32 v[8:9], v9
	v_mul_f64 v[0:1], v[0:1], s[0:1]
	v_mul_f64 v[2:3], v[2:3], s[0:1]
	;; [unrolled: 1-line block ×4, first 2 shown]
	v_cvt_f64_f32_e32 v[10:11], v36
	v_cvt_f64_f32_e32 v[12:13], v12
	global_load_dwordx2 v[34:35], v[32:33], off offset:384
	v_cvt_f64_f32_e32 v[14:15], v37
	v_cvt_f32_f64_e32 v0, v[0:1]
	v_cvt_f32_f64_e32 v1, v[2:3]
	;; [unrolled: 1-line block ×4, first 2 shown]
	v_cvt_f64_f32_e32 v[18:19], v18
	v_mul_f64 v[10:11], v[10:11], s[0:1]
	v_mul_f64 v[12:13], v[12:13], s[0:1]
	global_store_dwordx2 v[16:17], v[0:1], off
	global_store_dwordx2 v[20:21], v[2:3], off
	v_mul_f32_e32 v0, v7, v23
	v_fmac_f32_e32 v0, v6, v22
	v_mul_f64 v[14:15], v[14:15], s[0:1]
	v_mul_f64 v[18:19], v[18:19], s[0:1]
	v_cvt_f64_f32_e32 v[0:1], v0
	v_cvt_f32_f64_e32 v4, v[10:11]
	v_cvt_f32_f64_e32 v5, v[12:13]
	v_add_co_u32_e32 v8, vcc, s3, v20
	v_mul_f64 v[10:11], v[0:1], s[0:1]
	v_mul_f32_e32 v0, v6, v23
	v_fma_f32 v0, v22, v7, -v0
	global_load_dwordx2 v[6:7], v[32:33], off offset:944
	v_addc_co_u32_e32 v9, vcc, v21, v38, vcc
	global_store_dwordx2 v[8:9], v[4:5], off
	v_cvt_f32_f64_e32 v4, v[14:15]
	v_cvt_f32_f64_e32 v5, v[18:19]
	v_cvt_f64_f32_e32 v[12:13], v0
	v_add_u32_e32 v0, 0x800, v90
	ds_read2_b64 v[0:3], v0 offset0:94 offset1:164
	v_mov_b32_e32 v14, s4
	v_add_co_u32_e32 v8, vcc, s3, v8
	v_addc_co_u32_e32 v9, vcc, v9, v14, vcc
	global_store_dwordx2 v[8:9], v[4:5], off
	v_mul_f64 v[4:5], v[12:13], s[0:1]
	v_cvt_f32_f64_e32 v10, v[10:11]
	s_waitcnt vmcnt(8) lgkmcnt(0)
	v_mul_f32_e32 v11, v1, v25
	v_fmac_f32_e32 v11, v0, v24
	v_cvt_f64_f32_e32 v[12:13], v11
	v_add_co_u32_e32 v8, vcc, s3, v8
	v_addc_co_u32_e32 v9, vcc, v9, v14, vcc
	v_cvt_f32_f64_e32 v11, v[4:5]
	v_mul_f64 v[4:5], v[12:13], s[0:1]
	global_load_dwordx2 v[12:13], v[32:33], off offset:1504
	global_load_dwordx2 v[14:15], v[32:33], off offset:2064
	v_mul_f32_e32 v0, v0, v25
	v_fma_f32 v0, v24, v1, -v0
	v_cvt_f64_f32_e32 v[0:1], v0
	global_store_dwordx2 v[8:9], v[10:11], off
	v_mov_b32_e32 v18, s4
	v_cvt_f32_f64_e32 v4, v[4:5]
	v_mul_f64 v[0:1], v[0:1], s[0:1]
	v_add_co_u32_e32 v8, vcc, s3, v8
	v_addc_co_u32_e32 v9, vcc, v9, v18, vcc
	v_cvt_f32_f64_e32 v5, v[0:1]
	s_waitcnt vmcnt(10)
	v_mul_f32_e32 v0, v3, v27
	v_fmac_f32_e32 v0, v2, v26
	v_cvt_f64_f32_e32 v[10:11], v0
	v_mul_f32_e32 v0, v2, v27
	v_fma_f32 v0, v26, v3, -v0
	v_cvt_f64_f32_e32 v[16:17], v0
	v_add_u32_e32 v0, 0xc00, v90
	ds_read2_b64 v[0:3], v0 offset0:106 offset1:176
	global_store_dwordx2 v[8:9], v[4:5], off
	v_mul_f64 v[4:5], v[10:11], s[0:1]
	v_mul_f64 v[10:11], v[16:17], s[0:1]
	v_add_co_u32_e32 v8, vcc, s3, v8
	s_waitcnt vmcnt(10) lgkmcnt(0)
	v_mul_f32_e32 v16, v1, v29
	v_fmac_f32_e32 v16, v0, v28
	v_mul_f32_e32 v0, v0, v29
	v_fma_f32 v0, v28, v1, -v0
	v_cvt_f64_f32_e32 v[0:1], v0
	v_cvt_f64_f32_e32 v[16:17], v16
	v_cvt_f32_f64_e32 v4, v[4:5]
	v_cvt_f32_f64_e32 v5, v[10:11]
	v_mul_f64 v[0:1], v[0:1], s[0:1]
	v_mul_f64 v[10:11], v[16:17], s[0:1]
	v_mov_b32_e32 v16, s4
	v_addc_co_u32_e32 v9, vcc, v9, v16, vcc
	global_store_dwordx2 v[8:9], v[4:5], off
	v_add_co_u32_e32 v8, vcc, s3, v8
	v_cvt_f32_f64_e32 v5, v[0:1]
	s_waitcnt vmcnt(10)
	v_mul_f32_e32 v0, v3, v35
	v_fmac_f32_e32 v0, v2, v34
	v_cvt_f32_f64_e32 v4, v[10:11]
	v_cvt_f64_f32_e32 v[10:11], v0
	v_mul_f32_e32 v0, v2, v35
	v_fma_f32 v0, v34, v3, -v0
	v_cvt_f64_f32_e32 v[16:17], v0
	v_add_u32_e32 v0, 0x1000, v90
	ds_read2_b64 v[0:3], v0 offset0:118 offset1:188
	v_addc_co_u32_e32 v9, vcc, v9, v18, vcc
	global_store_dwordx2 v[8:9], v[4:5], off
	v_mul_f64 v[4:5], v[10:11], s[0:1]
	v_mul_f64 v[10:11], v[16:17], s[0:1]
	s_waitcnt vmcnt(8) lgkmcnt(0)
	v_mul_f32_e32 v16, v1, v7
	v_fmac_f32_e32 v16, v0, v6
	v_mul_f32_e32 v0, v0, v7
	v_fma_f32 v0, v6, v1, -v0
	v_cvt_f64_f32_e32 v[0:1], v0
	v_cvt_f64_f32_e32 v[16:17], v16
	v_cvt_f32_f64_e32 v4, v[4:5]
	v_cvt_f32_f64_e32 v5, v[10:11]
	v_mul_f64 v[0:1], v[0:1], s[0:1]
	v_mul_f64 v[6:7], v[16:17], s[0:1]
	v_mov_b32_e32 v10, s4
	v_add_co_u32_e32 v8, vcc, s3, v8
	v_addc_co_u32_e32 v9, vcc, v9, v10, vcc
	global_store_dwordx2 v[8:9], v[4:5], off
	v_cvt_f32_f64_e32 v5, v[0:1]
	v_cvt_f32_f64_e32 v4, v[6:7]
	v_mov_b32_e32 v16, s4
	s_waitcnt vmcnt(6)
	v_mul_f32_e32 v0, v3, v13
	v_fmac_f32_e32 v0, v2, v12
	v_cvt_f64_f32_e32 v[6:7], v0
	v_mul_f32_e32 v0, v2, v13
	v_fma_f32 v0, v12, v3, -v0
	v_cvt_f64_f32_e32 v[10:11], v0
	v_add_u32_e32 v0, 0x1800, v90
	ds_read2_b64 v[0:3], v0 offset0:2 offset1:72
	v_add_co_u32_e32 v8, vcc, s3, v8
	v_addc_co_u32_e32 v9, vcc, v9, v16, vcc
	global_store_dwordx2 v[8:9], v[4:5], off
	v_mul_f64 v[4:5], v[6:7], s[0:1]
	v_mul_f64 v[6:7], v[10:11], s[0:1]
	s_waitcnt vmcnt(6) lgkmcnt(0)
	v_mul_f32_e32 v10, v1, v15
	v_fmac_f32_e32 v10, v0, v14
	v_mul_f32_e32 v0, v0, v15
	v_fma_f32 v0, v14, v1, -v0
	v_cvt_f64_f32_e32 v[10:11], v10
	v_cvt_f64_f32_e32 v[0:1], v0
	v_cvt_f32_f64_e32 v4, v[4:5]
	v_cvt_f32_f64_e32 v5, v[6:7]
	v_mul_f64 v[6:7], v[10:11], s[0:1]
	v_mul_f64 v[0:1], v[0:1], s[0:1]
	v_mov_b32_e32 v10, s4
	v_add_co_u32_e32 v8, vcc, s3, v8
	v_addc_co_u32_e32 v9, vcc, v9, v10, vcc
	global_store_dwordx2 v[8:9], v[4:5], off
	v_cvt_f32_f64_e32 v4, v[6:7]
	v_cvt_f32_f64_e32 v5, v[0:1]
	v_mov_b32_e32 v1, s4
	v_add_co_u32_e32 v0, vcc, s3, v8
	v_addc_co_u32_e32 v1, vcc, v9, v1, vcc
	global_store_dwordx2 v[0:1], v[4:5], off
	global_load_dwordx2 v[4:5], v[32:33], off offset:2624
	v_add_co_u32_e32 v0, vcc, s3, v0
	s_waitcnt vmcnt(0)
	v_mul_f32_e32 v6, v3, v5
	v_fmac_f32_e32 v6, v2, v4
	v_mul_f32_e32 v2, v2, v5
	v_fma_f32 v2, v4, v3, -v2
	v_cvt_f64_f32_e32 v[6:7], v6
	v_cvt_f64_f32_e32 v[2:3], v2
	v_mul_f64 v[4:5], v[6:7], s[0:1]
	v_mul_f64 v[2:3], v[2:3], s[0:1]
	v_cvt_f32_f64_e32 v4, v[4:5]
	v_cvt_f32_f64_e32 v5, v[2:3]
	v_mov_b32_e32 v2, s4
	v_addc_co_u32_e32 v1, vcc, v1, v2, vcc
	global_store_dwordx2 v[0:1], v[4:5], off
.LBB0_23:
	s_endpgm
	.section	.rodata,"a",@progbits
	.p2align	6, 0x0
	.amdhsa_kernel bluestein_single_fwd_len910_dim1_sp_op_CI_CI
		.amdhsa_group_segment_fixed_size 14560
		.amdhsa_private_segment_fixed_size 0
		.amdhsa_kernarg_size 104
		.amdhsa_user_sgpr_count 6
		.amdhsa_user_sgpr_private_segment_buffer 1
		.amdhsa_user_sgpr_dispatch_ptr 0
		.amdhsa_user_sgpr_queue_ptr 0
		.amdhsa_user_sgpr_kernarg_segment_ptr 1
		.amdhsa_user_sgpr_dispatch_id 0
		.amdhsa_user_sgpr_flat_scratch_init 0
		.amdhsa_user_sgpr_private_segment_size 0
		.amdhsa_uses_dynamic_stack 0
		.amdhsa_system_sgpr_private_segment_wavefront_offset 0
		.amdhsa_system_sgpr_workgroup_id_x 1
		.amdhsa_system_sgpr_workgroup_id_y 0
		.amdhsa_system_sgpr_workgroup_id_z 0
		.amdhsa_system_sgpr_workgroup_info 0
		.amdhsa_system_vgpr_workitem_id 0
		.amdhsa_next_free_vgpr 226
		.amdhsa_next_free_sgpr 20
		.amdhsa_reserve_vcc 1
		.amdhsa_reserve_flat_scratch 0
		.amdhsa_float_round_mode_32 0
		.amdhsa_float_round_mode_16_64 0
		.amdhsa_float_denorm_mode_32 3
		.amdhsa_float_denorm_mode_16_64 3
		.amdhsa_dx10_clamp 1
		.amdhsa_ieee_mode 1
		.amdhsa_fp16_overflow 0
		.amdhsa_exception_fp_ieee_invalid_op 0
		.amdhsa_exception_fp_denorm_src 0
		.amdhsa_exception_fp_ieee_div_zero 0
		.amdhsa_exception_fp_ieee_overflow 0
		.amdhsa_exception_fp_ieee_underflow 0
		.amdhsa_exception_fp_ieee_inexact 0
		.amdhsa_exception_int_div_zero 0
	.end_amdhsa_kernel
	.text
.Lfunc_end0:
	.size	bluestein_single_fwd_len910_dim1_sp_op_CI_CI, .Lfunc_end0-bluestein_single_fwd_len910_dim1_sp_op_CI_CI
                                        ; -- End function
	.section	.AMDGPU.csdata,"",@progbits
; Kernel info:
; codeLenInByte = 15228
; NumSgprs: 24
; NumVgprs: 226
; ScratchSize: 0
; MemoryBound: 0
; FloatMode: 240
; IeeeMode: 1
; LDSByteSize: 14560 bytes/workgroup (compile time only)
; SGPRBlocks: 2
; VGPRBlocks: 56
; NumSGPRsForWavesPerEU: 24
; NumVGPRsForWavesPerEU: 226
; Occupancy: 1
; WaveLimiterHint : 1
; COMPUTE_PGM_RSRC2:SCRATCH_EN: 0
; COMPUTE_PGM_RSRC2:USER_SGPR: 6
; COMPUTE_PGM_RSRC2:TRAP_HANDLER: 0
; COMPUTE_PGM_RSRC2:TGID_X_EN: 1
; COMPUTE_PGM_RSRC2:TGID_Y_EN: 0
; COMPUTE_PGM_RSRC2:TGID_Z_EN: 0
; COMPUTE_PGM_RSRC2:TIDIG_COMP_CNT: 0
	.type	__hip_cuid_7f87f48e556bb407,@object ; @__hip_cuid_7f87f48e556bb407
	.section	.bss,"aw",@nobits
	.globl	__hip_cuid_7f87f48e556bb407
__hip_cuid_7f87f48e556bb407:
	.byte	0                               ; 0x0
	.size	__hip_cuid_7f87f48e556bb407, 1

	.ident	"AMD clang version 19.0.0git (https://github.com/RadeonOpenCompute/llvm-project roc-6.4.0 25133 c7fe45cf4b819c5991fe208aaa96edf142730f1d)"
	.section	".note.GNU-stack","",@progbits
	.addrsig
	.addrsig_sym __hip_cuid_7f87f48e556bb407
	.amdgpu_metadata
---
amdhsa.kernels:
  - .args:
      - .actual_access:  read_only
        .address_space:  global
        .offset:         0
        .size:           8
        .value_kind:     global_buffer
      - .actual_access:  read_only
        .address_space:  global
        .offset:         8
        .size:           8
        .value_kind:     global_buffer
      - .actual_access:  read_only
        .address_space:  global
        .offset:         16
        .size:           8
        .value_kind:     global_buffer
      - .actual_access:  read_only
        .address_space:  global
        .offset:         24
        .size:           8
        .value_kind:     global_buffer
      - .actual_access:  read_only
        .address_space:  global
        .offset:         32
        .size:           8
        .value_kind:     global_buffer
      - .offset:         40
        .size:           8
        .value_kind:     by_value
      - .address_space:  global
        .offset:         48
        .size:           8
        .value_kind:     global_buffer
      - .address_space:  global
        .offset:         56
        .size:           8
        .value_kind:     global_buffer
      - .address_space:  global
        .offset:         64
        .size:           8
        .value_kind:     global_buffer
      - .address_space:  global
        .offset:         72
        .size:           8
        .value_kind:     global_buffer
      - .offset:         80
        .size:           4
        .value_kind:     by_value
      - .address_space:  global
        .offset:         88
        .size:           8
        .value_kind:     global_buffer
      - .address_space:  global
        .offset:         96
        .size:           8
        .value_kind:     global_buffer
    .group_segment_fixed_size: 14560
    .kernarg_segment_align: 8
    .kernarg_segment_size: 104
    .language:       OpenCL C
    .language_version:
      - 2
      - 0
    .max_flat_workgroup_size: 182
    .name:           bluestein_single_fwd_len910_dim1_sp_op_CI_CI
    .private_segment_fixed_size: 0
    .sgpr_count:     24
    .sgpr_spill_count: 0
    .symbol:         bluestein_single_fwd_len910_dim1_sp_op_CI_CI.kd
    .uniform_work_group_size: 1
    .uses_dynamic_stack: false
    .vgpr_count:     226
    .vgpr_spill_count: 0
    .wavefront_size: 64
amdhsa.target:   amdgcn-amd-amdhsa--gfx906
amdhsa.version:
  - 1
  - 2
...

	.end_amdgpu_metadata
